;; amdgpu-corpus repo=ROCm/rocFFT kind=compiled arch=gfx906 opt=O3
	.text
	.amdgcn_target "amdgcn-amd-amdhsa--gfx906"
	.amdhsa_code_object_version 6
	.protected	fft_rtc_back_len289_factors_17_17_wgs_119_tpt_17_sp_op_CI_CI_sbcc_twdbase6_3step_dirReg_intrinsicReadWrite ; -- Begin function fft_rtc_back_len289_factors_17_17_wgs_119_tpt_17_sp_op_CI_CI_sbcc_twdbase6_3step_dirReg_intrinsicReadWrite
	.globl	fft_rtc_back_len289_factors_17_17_wgs_119_tpt_17_sp_op_CI_CI_sbcc_twdbase6_3step_dirReg_intrinsicReadWrite
	.p2align	8
	.type	fft_rtc_back_len289_factors_17_17_wgs_119_tpt_17_sp_op_CI_CI_sbcc_twdbase6_3step_dirReg_intrinsicReadWrite,@function
fft_rtc_back_len289_factors_17_17_wgs_119_tpt_17_sp_op_CI_CI_sbcc_twdbase6_3step_dirReg_intrinsicReadWrite: ; @fft_rtc_back_len289_factors_17_17_wgs_119_tpt_17_sp_op_CI_CI_sbcc_twdbase6_3step_dirReg_intrinsicReadWrite
; %bb.0:
	s_load_dwordx2 s[28:29], s[4:5], 0x0
	s_load_dwordx8 s[8:15], s[4:5], 0x8
	s_load_dwordx4 s[20:23], s[4:5], 0x60
	s_load_dwordx2 s[2:3], s[4:5], 0x28
	s_movk_i32 s0, 0xc0
	v_cmp_gt_u32_e32 vcc, s0, v0
	s_and_saveexec_b64 s[4:5], vcc
	s_cbranch_execz .LBB0_3
; %bb.1:
	v_add_co_u32_e32 v1, vcc, 0xffffff89, v0
	v_lshlrev_b32_e32 v5, 3, v0
	v_addc_co_u32_e64 v2, s[0:1], 0, -1, vcc
	s_waitcnt lgkmcnt(0)
	v_mov_b32_e32 v4, s9
	v_add_co_u32_e32 v3, vcc, s8, v5
	v_add_u32_e32 v5, 0, v5
	v_addc_co_u32_e32 v4, vcc, 0, v4, vcc
	v_add_u32_e32 v5, 0x3f38, v5
	s_mov_b64 s[8:9], 0x48
	s_mov_b64 s[16:17], 0
.LBB0_2:                                ; =>This Inner Loop Header: Depth=1
	global_load_dwordx2 v[6:7], v[3:4], off
	v_add_co_u32_e32 v1, vcc, 0x77, v1
	v_addc_co_u32_e32 v2, vcc, 0, v2, vcc
	v_cmp_lt_u64_e64 s[0:1], s[8:9], v[1:2]
	v_add_co_u32_e32 v3, vcc, 0x3b8, v3
	v_addc_co_u32_e32 v4, vcc, 0, v4, vcc
	s_or_b64 s[16:17], s[0:1], s[16:17]
	s_waitcnt vmcnt(0)
	ds_write_b64 v5, v[6:7]
	v_add_u32_e32 v5, 0x3b8, v5
	s_andn2_b64 exec, exec, s[16:17]
	s_cbranch_execnz .LBB0_2
.LBB0_3:
	s_or_b64 exec, exec, s[4:5]
	s_waitcnt lgkmcnt(0)
	s_load_dwordx2 s[4:5], s[12:13], 0x8
	s_mov_b32 s7, 0
	s_mov_b64 s[30:31], 0
	s_waitcnt lgkmcnt(0)
	s_add_u32 s0, s4, -1
	s_addc_u32 s1, s5, -1
	s_add_u32 s8, 0, 0x92481000
	s_addc_u32 s9, 0, 0x64
	s_mul_hi_u32 s17, s8, -7
	s_add_i32 s9, s9, 0x249248c0
	s_sub_i32 s17, s17, s8
	s_mul_i32 s24, s9, -7
	s_mul_i32 s16, s8, -7
	s_add_i32 s17, s17, s24
	s_mul_hi_u32 s18, s9, s16
	s_mul_i32 s19, s9, s16
	s_mul_i32 s25, s8, s17
	s_mul_hi_u32 s16, s8, s16
	s_mul_hi_u32 s24, s8, s17
	s_add_u32 s16, s16, s25
	s_addc_u32 s24, 0, s24
	s_add_u32 s16, s16, s19
	s_mul_hi_u32 s25, s9, s17
	s_addc_u32 s16, s24, s18
	s_addc_u32 s18, s25, 0
	s_mul_i32 s17, s9, s17
	s_add_u32 s16, s16, s17
	v_mov_b32_e32 v1, s16
	s_addc_u32 s17, 0, s18
	v_add_co_u32_e32 v1, vcc, s8, v1
	s_cmp_lg_u64 vcc, 0
	s_addc_u32 s8, s9, s17
	v_readfirstlane_b32 s17, v1
	s_mul_i32 s16, s0, s8
	s_mul_hi_u32 s18, s0, s17
	s_mul_hi_u32 s9, s0, s8
	s_add_u32 s16, s18, s16
	s_addc_u32 s9, 0, s9
	s_mul_hi_u32 s19, s1, s17
	s_mul_i32 s17, s1, s17
	s_add_u32 s16, s16, s17
	s_mul_hi_u32 s18, s1, s8
	s_addc_u32 s9, s9, s19
	s_addc_u32 s16, s18, 0
	s_mul_i32 s8, s1, s8
	s_add_u32 s8, s9, s8
	s_addc_u32 s9, 0, s16
	s_add_u32 s16, s8, 1
	s_addc_u32 s17, s9, 0
	s_add_u32 s18, s8, 2
	s_mul_i32 s24, s9, 7
	s_mul_hi_u32 s25, s8, 7
	s_addc_u32 s19, s9, 0
	s_add_i32 s25, s25, s24
	s_mul_i32 s24, s8, 7
	v_mov_b32_e32 v1, s24
	v_sub_co_u32_e32 v1, vcc, s0, v1
	s_cmp_lg_u64 vcc, 0
	s_subb_u32 s0, s1, s25
	v_subrev_co_u32_e32 v2, vcc, 7, v1
	s_cmp_lg_u64 vcc, 0
	s_subb_u32 s1, s0, 0
	v_readfirstlane_b32 s24, v2
	s_cmp_gt_u32 s24, 6
	s_cselect_b32 s24, -1, 0
	s_cmp_eq_u32 s1, 0
	s_cselect_b32 s1, s24, -1
	s_cmp_lg_u32 s1, 0
	s_cselect_b32 s1, s18, s16
	s_cselect_b32 s16, s19, s17
	v_readfirstlane_b32 s17, v1
	s_cmp_gt_u32 s17, 6
	s_cselect_b32 s17, -1, 0
	s_cmp_eq_u32 s0, 0
	s_cselect_b32 s0, s17, -1
	s_cmp_lg_u32 s0, 0
	s_cselect_b32 s1, s1, s8
	s_cselect_b32 s0, s16, s9
	s_add_u32 s8, s1, 1
	s_addc_u32 s9, s0, 0
	v_mov_b32_e32 v1, s8
	v_mov_b32_e32 v2, s9
	v_cmp_lt_u64_e32 vcc, s[6:7], v[1:2]
	s_cbranch_vccnz .LBB0_5
; %bb.4:
	v_cvt_f32_u32_e32 v1, s8
	s_sub_i32 s0, 0, s8
	s_mov_b32 s31, s7
	v_rcp_iflag_f32_e32 v1, v1
	v_mul_f32_e32 v1, 0x4f7ffffe, v1
	v_cvt_u32_f32_e32 v1, v1
	v_readfirstlane_b32 s1, v1
	s_mul_i32 s0, s0, s1
	s_mul_hi_u32 s0, s1, s0
	s_add_i32 s1, s1, s0
	s_mul_hi_u32 s0, s6, s1
	s_mul_i32 s16, s0, s8
	s_sub_i32 s16, s6, s16
	s_add_i32 s1, s0, 1
	s_sub_i32 s17, s16, s8
	s_cmp_ge_u32 s16, s8
	s_cselect_b32 s0, s1, s0
	s_cselect_b32 s16, s17, s16
	s_add_i32 s1, s0, 1
	s_cmp_ge_u32 s16, s8
	s_cselect_b32 s30, s1, s0
.LBB0_5:
	s_mul_i32 s0, s30, s9
	s_mul_hi_u32 s1, s30, s8
	s_load_dwordx4 s[24:27], s[14:15], 0x0
	s_load_dwordx4 s[16:19], s[2:3], 0x0
	s_add_i32 s1, s1, s0
	s_mul_i32 s0, s30, s8
	s_waitcnt lgkmcnt(0)
	s_sub_u32 s25, s6, s0
	s_subb_u32 s0, 0, s1
	s_mul_i32 s0, s0, 7
	s_mul_hi_u32 s17, s25, 7
	s_add_i32 s17, s17, s0
	s_mul_i32 s25, s25, 7
	s_mul_i32 s0, s26, s17
	s_mul_hi_u32 s1, s26, s25
	s_add_i32 s0, s1, s0
	s_mul_i32 s1, s27, s25
	s_add_i32 s33, s0, s1
	s_mul_i32 s0, s18, s17
	s_mul_hi_u32 s1, s18, s25
	s_add_i32 s0, s1, s0
	s_mul_i32 s1, s19, s25
	s_add_i32 s46, s0, s1
	v_cmp_lt_u64_e64 s[0:1], s[10:11], 3
	s_mul_i32 s27, s26, s25
	s_mul_i32 s19, s18, s25
	s_and_b64 vcc, exec, s[0:1]
	s_cbranch_vccnz .LBB0_15
; %bb.6:
	s_add_u32 s34, s2, 16
	s_addc_u32 s35, s3, 0
	s_add_u32 s36, s14, 16
	s_addc_u32 s37, s15, 0
	s_add_u32 s12, s12, 16
	v_mov_b32_e32 v1, s10
	s_addc_u32 s13, s13, 0
	s_mov_b64 s[38:39], 2
	s_mov_b32 s40, 0
	v_mov_b32_e32 v2, s11
.LBB0_7:                                ; =>This Inner Loop Header: Depth=1
	s_load_dwordx2 s[42:43], s[12:13], 0x0
	s_waitcnt lgkmcnt(0)
	s_or_b64 s[0:1], s[30:31], s[42:43]
	s_mov_b32 s41, s1
	s_cmp_lg_u64 s[40:41], 0
	s_cbranch_scc0 .LBB0_12
; %bb.8:                                ;   in Loop: Header=BB0_7 Depth=1
	v_cvt_f32_u32_e32 v3, s42
	v_cvt_f32_u32_e32 v4, s43
	s_sub_u32 s0, 0, s42
	s_subb_u32 s1, 0, s43
	v_mac_f32_e32 v3, 0x4f800000, v4
	v_rcp_f32_e32 v3, v3
	v_mul_f32_e32 v3, 0x5f7ffffc, v3
	v_mul_f32_e32 v4, 0x2f800000, v3
	v_trunc_f32_e32 v4, v4
	v_mac_f32_e32 v3, 0xcf800000, v4
	v_cvt_u32_f32_e32 v4, v4
	v_cvt_u32_f32_e32 v3, v3
	v_readfirstlane_b32 s41, v4
	v_readfirstlane_b32 s44, v3
	s_mul_i32 s45, s0, s41
	s_mul_hi_u32 s48, s0, s44
	s_mul_i32 s47, s1, s44
	s_add_i32 s45, s48, s45
	s_mul_i32 s49, s0, s44
	s_add_i32 s45, s45, s47
	s_mul_hi_u32 s47, s44, s45
	s_mul_i32 s48, s44, s45
	s_mul_hi_u32 s44, s44, s49
	s_add_u32 s44, s44, s48
	s_addc_u32 s47, 0, s47
	s_mul_hi_u32 s50, s41, s49
	s_mul_i32 s49, s41, s49
	s_add_u32 s44, s44, s49
	s_mul_hi_u32 s48, s41, s45
	s_addc_u32 s44, s47, s50
	s_addc_u32 s47, s48, 0
	s_mul_i32 s45, s41, s45
	s_add_u32 s44, s44, s45
	s_addc_u32 s45, 0, s47
	v_add_co_u32_e32 v3, vcc, s44, v3
	s_cmp_lg_u64 vcc, 0
	s_addc_u32 s41, s41, s45
	v_readfirstlane_b32 s45, v3
	s_mul_i32 s44, s0, s41
	s_mul_hi_u32 s47, s0, s45
	s_add_i32 s44, s47, s44
	s_mul_i32 s1, s1, s45
	s_add_i32 s44, s44, s1
	s_mul_i32 s0, s0, s45
	s_mul_hi_u32 s47, s41, s0
	s_mul_i32 s48, s41, s0
	s_mul_i32 s50, s45, s44
	s_mul_hi_u32 s0, s45, s0
	s_mul_hi_u32 s49, s45, s44
	s_add_u32 s0, s0, s50
	s_addc_u32 s45, 0, s49
	s_add_u32 s0, s0, s48
	s_mul_hi_u32 s1, s41, s44
	s_addc_u32 s0, s45, s47
	s_addc_u32 s1, s1, 0
	s_mul_i32 s44, s41, s44
	s_add_u32 s0, s0, s44
	s_addc_u32 s1, 0, s1
	v_add_co_u32_e32 v3, vcc, s0, v3
	s_cmp_lg_u64 vcc, 0
	s_addc_u32 s0, s41, s1
	v_readfirstlane_b32 s44, v3
	s_mul_i32 s41, s30, s0
	s_mul_hi_u32 s45, s30, s44
	s_mul_hi_u32 s1, s30, s0
	s_add_u32 s41, s45, s41
	s_addc_u32 s1, 0, s1
	s_mul_hi_u32 s47, s31, s44
	s_mul_i32 s44, s31, s44
	s_add_u32 s41, s41, s44
	s_mul_hi_u32 s45, s31, s0
	s_addc_u32 s1, s1, s47
	s_addc_u32 s41, s45, 0
	s_mul_i32 s0, s31, s0
	s_add_u32 s44, s1, s0
	s_addc_u32 s41, 0, s41
	s_mul_i32 s0, s42, s41
	s_mul_hi_u32 s1, s42, s44
	s_add_i32 s0, s1, s0
	s_mul_i32 s1, s43, s44
	s_add_i32 s45, s0, s1
	s_mul_i32 s1, s42, s44
	v_mov_b32_e32 v3, s1
	s_sub_i32 s0, s31, s45
	v_sub_co_u32_e32 v3, vcc, s30, v3
	s_cmp_lg_u64 vcc, 0
	s_subb_u32 s47, s0, s43
	v_subrev_co_u32_e64 v4, s[0:1], s42, v3
	s_cmp_lg_u64 s[0:1], 0
	s_subb_u32 s0, s47, 0
	s_cmp_ge_u32 s0, s43
	v_readfirstlane_b32 s47, v4
	s_cselect_b32 s1, -1, 0
	s_cmp_ge_u32 s47, s42
	s_cselect_b32 s47, -1, 0
	s_cmp_eq_u32 s0, s43
	s_cselect_b32 s0, s47, s1
	s_add_u32 s1, s44, 1
	s_addc_u32 s47, s41, 0
	s_add_u32 s48, s44, 2
	s_addc_u32 s49, s41, 0
	s_cmp_lg_u32 s0, 0
	s_cselect_b32 s0, s48, s1
	s_cselect_b32 s1, s49, s47
	s_cmp_lg_u64 vcc, 0
	s_subb_u32 s45, s31, s45
	s_cmp_ge_u32 s45, s43
	v_readfirstlane_b32 s48, v3
	s_cselect_b32 s47, -1, 0
	s_cmp_ge_u32 s48, s42
	s_cselect_b32 s48, -1, 0
	s_cmp_eq_u32 s45, s43
	s_cselect_b32 s45, s48, s47
	s_cmp_lg_u32 s45, 0
	s_cselect_b32 s1, s1, s41
	s_cselect_b32 s0, s0, s44
	s_cbranch_execnz .LBB0_10
.LBB0_9:                                ;   in Loop: Header=BB0_7 Depth=1
	v_cvt_f32_u32_e32 v3, s42
	s_sub_i32 s0, 0, s42
	v_rcp_iflag_f32_e32 v3, v3
	v_mul_f32_e32 v3, 0x4f7ffffe, v3
	v_cvt_u32_f32_e32 v3, v3
	v_readfirstlane_b32 s1, v3
	s_mul_i32 s0, s0, s1
	s_mul_hi_u32 s0, s1, s0
	s_add_i32 s1, s1, s0
	s_mul_hi_u32 s0, s30, s1
	s_mul_i32 s41, s0, s42
	s_sub_i32 s41, s30, s41
	s_add_i32 s1, s0, 1
	s_sub_i32 s44, s41, s42
	s_cmp_ge_u32 s41, s42
	s_cselect_b32 s0, s1, s0
	s_cselect_b32 s41, s44, s41
	s_add_i32 s1, s0, 1
	s_cmp_ge_u32 s41, s42
	s_cselect_b32 s0, s1, s0
	s_mov_b32 s1, s40
.LBB0_10:                               ;   in Loop: Header=BB0_7 Depth=1
	s_mul_i32 s9, s42, s9
	s_mul_hi_u32 s41, s42, s8
	s_add_i32 s9, s41, s9
	s_mul_i32 s41, s43, s8
	s_add_i32 s9, s9, s41
	s_mul_i32 s41, s0, s43
	s_mul_hi_u32 s43, s0, s42
	s_load_dwordx2 s[44:45], s[36:37], 0x0
	s_add_i32 s41, s43, s41
	s_mul_i32 s43, s1, s42
	s_mul_i32 s8, s42, s8
	s_add_i32 s41, s41, s43
	s_mul_i32 s42, s0, s42
	s_sub_u32 s42, s30, s42
	s_subb_u32 s41, s31, s41
	s_waitcnt lgkmcnt(0)
	s_mul_i32 s30, s44, s41
	s_mul_hi_u32 s31, s44, s42
	s_add_i32 s43, s31, s30
	s_load_dwordx2 s[30:31], s[34:35], 0x0
	s_mul_i32 s45, s45, s42
	s_add_i32 s43, s43, s45
	s_mul_i32 s44, s44, s42
	s_add_u32 s27, s44, s27
	s_addc_u32 s33, s43, s33
	s_waitcnt lgkmcnt(0)
	s_mul_i32 s41, s30, s41
	s_mul_hi_u32 s43, s30, s42
	s_add_i32 s41, s43, s41
	s_mul_i32 s31, s31, s42
	s_add_i32 s41, s41, s31
	s_mul_i32 s30, s30, s42
	s_add_u32 s19, s30, s19
	s_addc_u32 s46, s41, s46
	s_add_u32 s38, s38, 1
	s_addc_u32 s39, s39, 0
	;; [unrolled: 2-line block ×4, first 2 shown]
	v_cmp_ge_u64_e32 vcc, s[38:39], v[1:2]
	s_add_u32 s12, s12, 8
	s_addc_u32 s13, s13, 0
	s_cbranch_vccnz .LBB0_13
; %bb.11:                               ;   in Loop: Header=BB0_7 Depth=1
	s_mov_b64 s[30:31], s[0:1]
	s_branch .LBB0_7
.LBB0_12:                               ;   in Loop: Header=BB0_7 Depth=1
                                        ; implicit-def: $sgpr0_sgpr1
	s_branch .LBB0_9
.LBB0_13:
	v_mov_b32_e32 v1, s8
	v_mov_b32_e32 v2, s9
	v_cmp_lt_u64_e32 vcc, s[6:7], v[1:2]
	s_mov_b64 s[30:31], 0
	s_cbranch_vccnz .LBB0_15
; %bb.14:
	v_cvt_f32_u32_e32 v1, s8
	s_sub_i32 s0, 0, s8
	v_rcp_iflag_f32_e32 v1, v1
	v_mul_f32_e32 v1, 0x4f7ffffe, v1
	v_cvt_u32_f32_e32 v1, v1
	v_readfirstlane_b32 s1, v1
	s_mul_i32 s0, s0, s1
	s_mul_hi_u32 s0, s1, s0
	s_add_i32 s1, s1, s0
	s_mul_hi_u32 s0, s6, s1
	s_mul_i32 s7, s0, s8
	s_sub_i32 s6, s6, s7
	s_add_i32 s1, s0, 1
	s_sub_i32 s7, s6, s8
	s_cmp_ge_u32 s6, s8
	s_cselect_b32 s0, s1, s0
	s_cselect_b32 s6, s7, s6
	s_add_i32 s1, s0, 1
	s_cmp_ge_u32 s6, s8
	s_cselect_b32 s30, s1, s0
.LBB0_15:
	s_lshl_b64 s[0:1], s[10:11], 3
	s_add_u32 s6, s14, s0
	s_addc_u32 s7, s15, s1
	s_load_dword s6, s[6:7], 0x0
	s_mov_b32 s7, 0x24924925
	v_mul_hi_u32 v28, v0, s7
	v_mov_b32_e32 v1, s17
	s_mov_b32 s8, 0xbf1a4643
	s_waitcnt lgkmcnt(0)
	s_mul_i32 s6, s6, s30
	s_add_i32 s7, s6, s27
	s_add_u32 s0, s2, s0
	s_addc_u32 s1, s3, s1
	s_load_dword s0, s[0:1], 0x0
	v_mul_u32_u24_e32 v2, 7, v28
	v_sub_u32_e32 v34, v0, v2
	v_mul_lo_u32 v31, s26, v34
	v_mul_lo_u32 v3, s24, v28
	s_waitcnt lgkmcnt(0)
	s_mul_i32 s6, s0, s30
	s_add_i32 s6, s6, s19
	v_add_co_u32_e32 v5, vcc, s25, v34
	v_addc_co_u32_e32 v6, vcc, 0, v1, vcc
	s_add_u32 s0, s25, 7
	v_mov_b32_e32 v1, s4
	s_addc_u32 s1, s17, 0
	v_mov_b32_e32 v2, s5
	v_cmp_le_u64_e32 vcc, s[0:1], v[1:2]
	v_add_lshl_u32 v1, v31, v3, 3
	v_add_u32_e32 v3, 34, v28
	v_add_u32_e32 v2, 17, v28
	v_mul_lo_u32 v3, s24, v3
	v_add_u32_e32 v4, 51, v28
	v_mul_lo_u32 v2, s24, v2
	v_mul_lo_u32 v4, s24, v4
	v_cmp_gt_u64_e64 s[0:1], s[4:5], v[5:6]
	v_add_lshl_u32 v3, v31, v3, 3
	s_or_b64 vcc, vcc, s[0:1]
	s_lshl_b32 s4, s7, 3
	v_cndmask_b32_e32 v1, -1, v1, vcc
	s_mov_b32 s3, 0x20000
	s_mov_b32 s2, -2
	s_mov_b32 s0, s20
	s_mov_b32 s1, s21
	v_add_lshl_u32 v2, v31, v2, 3
	v_cndmask_b32_e32 v3, -1, v3, vcc
	v_add_lshl_u32 v4, v31, v4, 3
	v_cndmask_b32_e32 v2, -1, v2, vcc
	v_add_u32_e32 v6, 0x44, v28
	v_cndmask_b32_e32 v4, -1, v4, vcc
	buffer_load_dwordx2 v[12:13], v1, s[0:3], s4 offen
	buffer_load_dwordx2 v[29:30], v2, s[0:3], s4 offen
	;; [unrolled: 1-line block ×4, first 2 shown]
	v_add_u32_e32 v3, 0x66, v28
	v_mul_lo_u32 v6, s24, v6
	v_add_u32_e32 v2, 0x55, v28
	v_mul_lo_u32 v3, s24, v3
	;; [unrolled: 2-line block ×3, first 2 shown]
	v_mul_lo_u32 v4, s24, v4
	v_add_lshl_u32 v1, v31, v6, 3
	v_add_lshl_u32 v3, v31, v3, 3
	v_cndmask_b32_e32 v1, -1, v1, vcc
	v_add_lshl_u32 v2, v31, v2, 3
	v_cndmask_b32_e32 v3, -1, v3, vcc
	;; [unrolled: 2-line block ×3, first 2 shown]
	v_cndmask_b32_e32 v4, -1, v4, vcc
	buffer_load_dwordx2 v[22:23], v1, s[0:3], s4 offen
	buffer_load_dwordx2 v[18:19], v2, s[0:3], s4 offen
	buffer_load_dwordx2 v[14:15], v3, s[0:3], s4 offen
	buffer_load_dwordx2 v[8:9], v4, s[0:3], s4 offen
	v_add_u32_e32 v3, 0xaa, v28
	v_add_u32_e32 v6, 0x88, v28
	v_mul_lo_u32 v3, s24, v3
	v_mul_lo_u32 v6, s24, v6
	v_add_u32_e32 v2, 0x99, v28
	v_add_u32_e32 v4, 0xbb, v28
	v_mul_lo_u32 v2, s24, v2
	v_mul_lo_u32 v4, s24, v4
	v_add_lshl_u32 v3, v31, v3, 3
	v_add_lshl_u32 v1, v31, v6, 3
	v_cndmask_b32_e32 v20, -1, v3, vcc
	v_add_u32_e32 v3, 0xcc, v28
	v_cndmask_b32_e32 v1, -1, v1, vcc
	v_add_lshl_u32 v2, v31, v2, 3
	v_mul_lo_u32 v21, s24, v3
	v_add_lshl_u32 v3, v31, v4, 3
	v_cndmask_b32_e32 v2, -1, v2, vcc
	v_cndmask_b32_e32 v24, -1, v3, vcc
	buffer_load_dwordx2 v[3:4], v1, s[0:3], s4 offen
	buffer_load_dwordx2 v[6:7], v2, s[0:3], s4 offen
	;; [unrolled: 1-line block ×4, first 2 shown]
	v_add_u32_e32 v20, 0xee, v28
	v_mul_lo_u32 v20, s24, v20
	v_add_u32_e32 v2, 0xdd, v28
	v_mul_lo_u32 v2, s24, v2
	v_add_lshl_u32 v1, v31, v21, 3
	v_add_lshl_u32 v20, v31, v20, 3
	v_cndmask_b32_e32 v32, -1, v20, vcc
	v_add_u32_e32 v20, 0xff, v28
	v_mul_lo_u32 v24, s24, v20
	v_add_u32_e32 v20, 0x110, v28
	v_mul_lo_u32 v33, s24, v20
	v_cndmask_b32_e32 v1, -1, v1, vcc
	v_add_lshl_u32 v2, v31, v2, 3
	buffer_load_dwordx2 v[20:21], v1, s[0:3], s4 offen
	v_add_lshl_u32 v1, v31, v24, 3
	v_cndmask_b32_e32 v2, -1, v2, vcc
	v_cndmask_b32_e32 v1, -1, v1, vcc
	buffer_load_dwordx2 v[24:25], v2, s[0:3], s4 offen
	buffer_load_dwordx2 v[49:50], v32, s[0:3], s4 offen
	;; [unrolled: 1-line block ×3, first 2 shown]
	v_add_lshl_u32 v1, v31, v33, 3
	v_cndmask_b32_e32 v1, -1, v1, vcc
	buffer_load_dwordx2 v[35:36], v1, s[0:3], s4 offen
	s_mov_b32 s7, 0x3f6eb680
	s_mov_b32 s4, 0x3f3d2fb0
	;; [unrolled: 1-line block ×8, first 2 shown]
	s_waitcnt vmcnt(15)
	v_add_f32_e32 v2, v13, v30
	s_waitcnt vmcnt(14)
	v_add_f32_e32 v2, v2, v47
	v_add_f32_e32 v1, v12, v29
	s_waitcnt vmcnt(13)
	v_add_f32_e32 v2, v2, v27
	v_add_f32_e32 v1, v1, v46
	;; [unrolled: 1-line block ×3, first 2 shown]
	s_waitcnt vmcnt(12)
	v_add_f32_e32 v2, v2, v23
	s_waitcnt vmcnt(11)
	v_add_f32_e32 v2, v2, v19
	v_add_f32_e32 v1, v1, v22
	s_waitcnt vmcnt(10)
	v_add_f32_e32 v2, v2, v15
	;; [unrolled: 3-line block ×3, first 2 shown]
	v_add_f32_e32 v1, v1, v14
	v_add_f32_e32 v1, v1, v8
	s_waitcnt vmcnt(8)
	v_add_f32_e32 v2, v2, v4
	s_waitcnt vmcnt(7)
	v_add_f32_e32 v2, v2, v7
	v_add_f32_e32 v1, v1, v3
	s_waitcnt vmcnt(6)
	v_add_f32_e32 v2, v2, v11
	;; [unrolled: 3-line block ×3, first 2 shown]
	v_add_f32_e32 v1, v1, v10
	v_add_f32_e32 v1, v1, v16
	s_waitcnt vmcnt(4)
	v_add_f32_e32 v2, v2, v21
	v_add_f32_e32 v1, v1, v20
	s_waitcnt vmcnt(3)
	v_add_f32_e32 v2, v2, v25
	s_waitcnt vmcnt(2)
	v_add_f32_e32 v2, v2, v50
	v_add_f32_e32 v1, v1, v24
	s_waitcnt vmcnt(1)
	v_add_f32_e32 v2, v2, v52
	s_waitcnt vmcnt(0)
	v_sub_f32_e32 v42, v30, v36
	v_add_f32_e32 v1, v1, v49
	v_add_f32_e32 v2, v2, v36
	;; [unrolled: 1-line block ×3, first 2 shown]
	v_mul_f32_e32 v30, 0xbeb8f4ab, v42
	v_mul_f32_e32 v33, 0xbf2c7751, v42
	;; [unrolled: 1-line block ×5, first 2 shown]
	v_add_f32_e32 v43, v51, v46
	v_add_f32_e32 v45, v52, v47
	v_sub_f32_e32 v44, v46, v51
	v_sub_f32_e32 v46, v47, v52
	v_add_f32_e32 v48, v50, v27
	v_sub_f32_e32 v27, v27, v50
	v_add_f32_e32 v50, v25, v23
	;; [unrolled: 2-line block ×4, first 2 shown]
	v_sub_f32_e32 v15, v15, v17
	v_mul_f32_e32 v17, 0xbf4c4adb, v42
	v_mul_f32_e32 v52, 0xbf06c442, v42
	;; [unrolled: 1-line block ×3, first 2 shown]
	v_add_f32_e32 v1, v1, v51
	v_add_f32_e32 v40, v35, v29
	v_mov_b32_e32 v54, v42
	v_add_f32_e32 v1, v1, v35
	v_sub_f32_e32 v29, v29, v35
	v_fma_f32 v31, v40, s7, -v30
	v_fmac_f32_e32 v30, 0x3f6eb680, v40
	v_fma_f32 v35, v40, s4, -v33
	v_fmac_f32_e32 v33, 0x3f3d2fb0, v40
	;; [unrolled: 2-line block ×4, first 2 shown]
	v_add_f32_e32 v47, v49, v26
	v_sub_f32_e32 v26, v26, v49
	v_add_f32_e32 v49, v24, v22
	v_sub_f32_e32 v22, v22, v24
	;; [unrolled: 2-line block ×4, first 2 shown]
	v_fma_f32 v16, v40, s5, -v41
	v_fmac_f32_e32 v41, 0xbe8c1d8e, v40
	v_fma_f32 v51, v40, s8, -v17
	v_fmac_f32_e32 v17, 0xbf1a4643, v40
	;; [unrolled: 2-line block ×3, first 2 shown]
	v_fmac_f32_e32 v54, 0xbf7ba420, v40
	v_fma_f32 v40, v40, s10, -v42
	v_mul_f32_e32 v42, 0x3f6eb680, v32
	v_mul_f32_e32 v56, 0x3f3d2fb0, v32
	;; [unrolled: 1-line block ×8, first 2 shown]
	v_mov_b32_e32 v55, v42
	v_mov_b32_e32 v57, v56
	;; [unrolled: 1-line block ×8, first 2 shown]
	v_fmac_f32_e32 v55, 0x3eb8f4ab, v29
	v_fmac_f32_e32 v42, 0xbeb8f4ab, v29
	;; [unrolled: 1-line block ×16, first 2 shown]
	v_add_f32_e32 v29, v12, v30
	v_add_f32_e32 v30, v13, v55
	v_add_f32_e32 v42, v13, v42
	v_add_f32_e32 v55, v13, v57
	v_add_f32_e32 v56, v13, v56
	v_add_f32_e32 v57, v13, v59
	v_add_f32_e32 v58, v13, v58
	v_add_f32_e32 v59, v13, v61
	v_add_f32_e32 v60, v13, v60
	v_add_f32_e32 v61, v13, v63
	v_add_f32_e32 v62, v13, v62
	v_add_f32_e32 v63, v13, v65
	v_add_f32_e32 v64, v13, v64
	v_add_f32_e32 v65, v13, v67
	v_add_f32_e32 v66, v13, v66
	v_add_f32_e32 v67, v13, v68
	v_add_f32_e32 v13, v13, v32
	v_mul_f32_e32 v32, 0xbf2c7751, v46
	v_add_f32_e32 v31, v12, v31
	v_add_f32_e32 v33, v12, v33
	;; [unrolled: 1-line block ×15, first 2 shown]
	v_fma_f32 v40, v43, s4, -v32
	v_fmac_f32_e32 v32, 0x3f3d2fb0, v43
	v_add_f32_e32 v29, v32, v29
	v_mul_f32_e32 v32, 0x3f3d2fb0, v45
	v_mov_b32_e32 v68, v32
	v_add_f32_e32 v31, v40, v31
	v_fmac_f32_e32 v32, 0xbf2c7751, v44
	v_mul_f32_e32 v40, 0xbf7ee86f, v46
	v_add_f32_e32 v32, v32, v42
	v_fma_f32 v42, v43, s0, -v40
	v_fmac_f32_e32 v40, 0x3dbcf732, v43
	v_fmac_f32_e32 v68, 0x3f2c7751, v44
	v_add_f32_e32 v33, v40, v33
	v_mul_f32_e32 v40, 0x3dbcf732, v45
	v_add_f32_e32 v30, v68, v30
	v_mov_b32_e32 v68, v40
	v_add_f32_e32 v35, v42, v35
	v_fmac_f32_e32 v40, 0xbf7ee86f, v44
	v_mul_f32_e32 v42, 0xbf4c4adb, v46
	v_add_f32_e32 v40, v40, v56
	v_fma_f32 v56, v43, s8, -v42
	v_fmac_f32_e32 v42, 0xbf1a4643, v43
	v_fmac_f32_e32 v68, 0x3f7ee86f, v44
	v_add_f32_e32 v36, v42, v36
	v_mul_f32_e32 v42, 0xbf1a4643, v45
	v_add_f32_e32 v55, v68, v55
	;; [unrolled: 11-line block ×5, first 2 shown]
	v_mov_b32_e32 v68, v60
	v_add_f32_e32 v51, v62, v51
	v_fmac_f32_e32 v60, 0x3f763a35, v44
	v_mul_f32_e32 v62, 0x3f65296c, v46
	v_add_f32_e32 v60, v60, v64
	v_fma_f32 v64, v43, s1, -v62
	v_mul_f32_e32 v46, 0x3eb8f4ab, v46
	v_fmac_f32_e32 v62, 0x3ee437d1, v43
	v_add_f32_e32 v53, v64, v53
	v_mov_b32_e32 v64, v46
	v_fmac_f32_e32 v68, 0xbf763a35, v44
	v_add_f32_e32 v52, v62, v52
	v_mul_f32_e32 v62, 0x3ee437d1, v45
	v_fmac_f32_e32 v64, 0x3f6eb680, v43
	v_mul_f32_e32 v45, 0x3f6eb680, v45
	v_fma_f32 v43, v43, s7, -v46
	v_add_f32_e32 v63, v68, v63
	v_mov_b32_e32 v68, v62
	v_add_f32_e32 v54, v64, v54
	v_mov_b32_e32 v64, v45
	v_add_f32_e32 v12, v43, v12
	v_mul_f32_e32 v43, 0xbf65296c, v27
	v_fmac_f32_e32 v68, 0xbf65296c, v44
	v_fmac_f32_e32 v62, 0x3f65296c, v44
	;; [unrolled: 1-line block ×4, first 2 shown]
	v_fma_f32 v44, v47, s1, -v43
	v_fmac_f32_e32 v43, 0x3ee437d1, v47
	v_add_f32_e32 v29, v43, v29
	v_mul_f32_e32 v43, 0x3ee437d1, v48
	v_add_f32_e32 v13, v45, v13
	v_mov_b32_e32 v45, v43
	v_fmac_f32_e32 v43, 0xbf65296c, v26
	v_add_f32_e32 v32, v43, v32
	v_mul_f32_e32 v43, 0xbf4c4adb, v27
	v_add_f32_e32 v31, v44, v31
	v_fma_f32 v44, v47, s8, -v43
	v_fmac_f32_e32 v43, 0xbf1a4643, v47
	v_fmac_f32_e32 v45, 0x3f65296c, v26
	v_add_f32_e32 v33, v43, v33
	v_mul_f32_e32 v43, 0xbf1a4643, v48
	v_add_f32_e32 v30, v45, v30
	v_mov_b32_e32 v45, v43
	v_fmac_f32_e32 v43, 0xbf4c4adb, v26
	v_add_f32_e32 v40, v43, v40
	v_mul_f32_e32 v43, 0x3e3c28d5, v27
	v_add_f32_e32 v35, v44, v35
	v_fma_f32 v44, v47, s10, -v43
	v_fmac_f32_e32 v43, 0xbf7ba420, v47
	v_add_f32_e32 v36, v43, v36
	v_mul_f32_e32 v43, 0xbf7ba420, v48
	v_mov_b32_e32 v46, v43
	v_fmac_f32_e32 v43, 0x3e3c28d5, v26
	v_add_f32_e32 v42, v43, v42
	v_mul_f32_e32 v43, 0x3f763a35, v27
	v_add_f32_e32 v37, v44, v37
	v_fma_f32 v44, v47, s5, -v43
	v_fmac_f32_e32 v43, 0xbe8c1d8e, v47
	v_fmac_f32_e32 v45, 0x3f4c4adb, v26
	v_add_f32_e32 v38, v43, v38
	v_mul_f32_e32 v43, 0xbe8c1d8e, v48
	v_add_f32_e32 v45, v45, v55
	v_mov_b32_e32 v55, v43
	v_add_f32_e32 v39, v44, v39
	v_fmac_f32_e32 v43, 0x3f763a35, v26
	v_mul_f32_e32 v44, 0x3f2c7751, v27
	v_add_f32_e32 v43, v43, v56
	v_fma_f32 v56, v47, s4, -v44
	v_fmac_f32_e32 v44, 0x3f3d2fb0, v47
	v_fmac_f32_e32 v46, 0xbe3c28d5, v26
	v_add_f32_e32 v41, v44, v41
	v_mul_f32_e32 v44, 0x3f3d2fb0, v48
	v_add_f32_e32 v46, v46, v57
	v_mov_b32_e32 v57, v44
	v_add_f32_e32 v16, v56, v16
	v_fmac_f32_e32 v44, 0x3f2c7751, v26
	;; [unrolled: 11-line block ×3, first 2 shown]
	v_mul_f32_e32 v58, 0xbf7ee86f, v27
	v_add_f32_e32 v56, v56, v60
	v_fma_f32 v60, v47, s0, -v58
	v_mul_f32_e32 v27, 0xbf06c442, v27
	v_fmac_f32_e32 v58, 0x3dbcf732, v47
	v_add_f32_e32 v53, v60, v53
	v_mov_b32_e32 v60, v27
	v_fmac_f32_e32 v57, 0xbf2c7751, v26
	v_add_f32_e32 v52, v58, v52
	v_mul_f32_e32 v58, 0x3dbcf732, v48
	v_fmac_f32_e32 v60, 0xbf59a7d5, v47
	v_mul_f32_e32 v48, 0xbf59a7d5, v48
	v_add_f32_e32 v57, v57, v61
	v_mov_b32_e32 v61, v58
	v_add_f32_e32 v54, v60, v54
	v_mov_b32_e32 v60, v48
	v_fmac_f32_e32 v59, 0x3eb8f4ab, v26
	v_fmac_f32_e32 v61, 0x3f7ee86f, v26
	;; [unrolled: 1-line block ×4, first 2 shown]
	v_fma_f32 v27, v47, s9, -v27
	v_fmac_f32_e32 v48, 0xbf06c442, v26
	v_mul_f32_e32 v26, 0xbf7ee86f, v23
	v_add_f32_e32 v12, v27, v12
	v_fma_f32 v27, v49, s0, -v26
	v_fmac_f32_e32 v26, 0x3dbcf732, v49
	v_add_f32_e32 v26, v26, v29
	v_mul_f32_e32 v29, 0x3dbcf732, v50
	v_mov_b32_e32 v47, v29
	v_add_f32_e32 v27, v27, v31
	v_fmac_f32_e32 v29, 0xbf7ee86f, v22
	v_mul_f32_e32 v31, 0xbe3c28d5, v23
	v_add_f32_e32 v29, v29, v32
	v_fma_f32 v32, v49, s10, -v31
	v_fmac_f32_e32 v31, 0xbf7ba420, v49
	v_fmac_f32_e32 v47, 0x3f7ee86f, v22
	v_add_f32_e32 v31, v31, v33
	v_mul_f32_e32 v33, 0xbf7ba420, v50
	v_add_f32_e32 v30, v47, v30
	v_mov_b32_e32 v47, v33
	v_add_f32_e32 v32, v32, v35
	v_fmac_f32_e32 v33, 0xbe3c28d5, v22
	v_mul_f32_e32 v35, 0x3f763a35, v23
	v_add_f32_e32 v33, v33, v40
	v_fma_f32 v40, v49, s5, -v35
	v_fmac_f32_e32 v35, 0xbe8c1d8e, v49
	v_fmac_f32_e32 v47, 0x3e3c28d5, v22
	v_add_f32_e32 v35, v35, v36
	v_mul_f32_e32 v36, 0xbe8c1d8e, v50
	v_add_f32_e32 v45, v47, v45
	;; [unrolled: 11-line block ×3, first 2 shown]
	v_mov_b32_e32 v47, v40
	v_add_f32_e32 v39, v42, v39
	v_fmac_f32_e32 v40, 0x3eb8f4ab, v22
	v_mul_f32_e32 v42, 0xbf65296c, v23
	v_add_f32_e32 v40, v40, v43
	v_fma_f32 v43, v49, s1, -v42
	v_fmac_f32_e32 v42, 0x3ee437d1, v49
	v_add_f32_e32 v41, v42, v41
	v_mul_f32_e32 v42, 0x3ee437d1, v50
	v_add_f32_e32 v13, v48, v13
	v_mov_b32_e32 v48, v42
	v_add_f32_e32 v16, v43, v16
	v_fmac_f32_e32 v42, 0xbf65296c, v22
	v_mul_f32_e32 v43, 0xbf06c442, v23
	v_add_f32_e32 v42, v42, v44
	v_fma_f32 v44, v49, s9, -v43
	v_fmac_f32_e32 v43, 0xbf59a7d5, v49
	v_fmac_f32_e32 v47, 0xbeb8f4ab, v22
	v_add_f32_e32 v17, v43, v17
	v_mul_f32_e32 v43, 0xbf59a7d5, v50
	v_add_f32_e32 v47, v47, v55
	v_mov_b32_e32 v55, v43
	v_add_f32_e32 v44, v44, v51
	v_fmac_f32_e32 v43, 0xbf06c442, v22
	v_mul_f32_e32 v51, 0x3f4c4adb, v23
	v_add_f32_e32 v43, v43, v56
	v_fma_f32 v56, v49, s8, -v51
	v_mul_f32_e32 v23, 0x3f2c7751, v23
	v_fmac_f32_e32 v51, 0xbf1a4643, v49
	v_add_f32_e32 v53, v56, v53
	v_mov_b32_e32 v56, v23
	v_fmac_f32_e32 v48, 0x3f65296c, v22
	v_add_f32_e32 v51, v51, v52
	v_mul_f32_e32 v52, 0xbf1a4643, v50
	v_fmac_f32_e32 v56, 0x3f3d2fb0, v49
	v_mul_f32_e32 v50, 0x3f3d2fb0, v50
	v_add_f32_e32 v48, v48, v57
	v_mov_b32_e32 v57, v52
	v_add_f32_e32 v54, v56, v54
	v_mov_b32_e32 v56, v50
	v_fmac_f32_e32 v55, 0x3f06c442, v22
	v_fmac_f32_e32 v57, 0xbf4c4adb, v22
	;; [unrolled: 1-line block ×4, first 2 shown]
	v_fma_f32 v23, v49, s4, -v23
	v_fmac_f32_e32 v50, 0x3f2c7751, v22
	v_mul_f32_e32 v22, 0xbf763a35, v19
	v_add_f32_e32 v12, v23, v12
	v_fma_f32 v23, v24, s5, -v22
	v_fmac_f32_e32 v22, 0xbe8c1d8e, v24
	v_add_f32_e32 v22, v22, v26
	v_mul_f32_e32 v26, 0xbe8c1d8e, v25
	v_mov_b32_e32 v49, v26
	v_add_f32_e32 v23, v23, v27
	v_fmac_f32_e32 v26, 0xbf763a35, v18
	v_mul_f32_e32 v27, 0x3f06c442, v19
	v_add_f32_e32 v26, v26, v29
	v_fma_f32 v29, v24, s9, -v27
	v_fmac_f32_e32 v27, 0xbf59a7d5, v24
	v_fmac_f32_e32 v49, 0x3f763a35, v18
	v_add_f32_e32 v27, v27, v31
	v_mul_f32_e32 v31, 0xbf59a7d5, v25
	v_add_f32_e32 v30, v49, v30
	v_mov_b32_e32 v49, v31
	v_add_f32_e32 v29, v29, v32
	v_fmac_f32_e32 v31, 0x3f06c442, v18
	v_mul_f32_e32 v32, 0x3f2c7751, v19
	v_add_f32_e32 v31, v31, v33
	v_fma_f32 v33, v24, s4, -v32
	v_fmac_f32_e32 v32, 0x3f3d2fb0, v24
	v_fmac_f32_e32 v49, 0xbf06c442, v18
	v_add_f32_e32 v32, v32, v35
	v_mul_f32_e32 v35, 0x3f3d2fb0, v25
	v_add_f32_e32 v45, v49, v45
	v_mov_b32_e32 v49, v35
	v_fmac_f32_e32 v35, 0x3f2c7751, v18
	v_add_f32_e32 v35, v35, v36
	v_mul_f32_e32 v36, 0xbf65296c, v19
	v_add_f32_e32 v33, v33, v37
	v_fma_f32 v37, v24, s1, -v36
	v_fmac_f32_e32 v36, 0x3ee437d1, v24
	v_fmac_f32_e32 v49, 0xbf2c7751, v18
	v_add_f32_e32 v36, v36, v38
	v_mul_f32_e32 v38, 0x3ee437d1, v25
	v_add_f32_e32 v46, v49, v46
	v_mov_b32_e32 v49, v38
	v_add_f32_e32 v37, v37, v39
	v_fmac_f32_e32 v38, 0xbf65296c, v18
	v_mul_f32_e32 v39, 0xbe3c28d5, v19
	v_add_f32_e32 v38, v38, v40
	v_fma_f32 v40, v24, s10, -v39
	v_fmac_f32_e32 v39, 0xbf7ba420, v24
	v_fmac_f32_e32 v49, 0x3f65296c, v18
	v_add_f32_e32 v39, v39, v41
	v_mul_f32_e32 v41, 0xbf7ba420, v25
	v_add_f32_e32 v47, v49, v47
	v_mov_b32_e32 v49, v41
	v_fmac_f32_e32 v41, 0xbe3c28d5, v18
	v_add_f32_e32 v16, v40, v16
	v_add_f32_e32 v40, v41, v42
	v_mul_f32_e32 v41, 0x3f7ee86f, v19
	v_fma_f32 v42, v24, s0, -v41
	v_fmac_f32_e32 v41, 0x3dbcf732, v24
	v_fmac_f32_e32 v49, 0x3e3c28d5, v18
	v_add_f32_e32 v17, v41, v17
	v_mul_f32_e32 v41, 0x3dbcf732, v25
	v_add_f32_e32 v48, v49, v48
	v_mov_b32_e32 v49, v41
	v_fmac_f32_e32 v41, 0x3f7ee86f, v18
	v_add_f32_e32 v62, v62, v66
	v_add_f32_e32 v41, v41, v43
	v_mul_f32_e32 v43, 0xbeb8f4ab, v19
	v_add_f32_e32 v58, v58, v62
	v_add_f32_e32 v13, v50, v13
	;; [unrolled: 1-line block ×3, first 2 shown]
	v_fma_f32 v44, v24, s7, -v43
	v_fmac_f32_e32 v43, 0x3f6eb680, v24
	v_mul_f32_e32 v50, 0x3f6eb680, v25
	v_mul_f32_e32 v25, 0xbf1a4643, v25
	v_add_f32_e32 v52, v52, v58
	v_add_f32_e32 v43, v43, v51
	v_mov_b32_e32 v51, v50
	v_add_f32_e32 v44, v44, v53
	v_fmac_f32_e32 v50, 0xbeb8f4ab, v18
	v_mul_f32_e32 v19, 0xbf4c4adb, v19
	v_mov_b32_e32 v53, v25
	v_fmac_f32_e32 v49, 0xbf7ee86f, v18
	v_fmac_f32_e32 v51, 0x3eb8f4ab, v18
	v_add_f32_e32 v50, v50, v52
	v_mov_b32_e32 v52, v19
	v_fmac_f32_e32 v53, 0x3f4c4adb, v18
	v_fma_f32 v19, v24, s8, -v19
	v_fmac_f32_e32 v25, 0xbf4c4adb, v18
	v_mul_f32_e32 v18, 0xbf4c4adb, v15
	v_add_f32_e32 v12, v19, v12
	v_fma_f32 v19, v20, s8, -v18
	v_fmac_f32_e32 v18, 0xbf1a4643, v20
	v_add_f32_e32 v18, v18, v22
	v_mul_f32_e32 v22, 0xbf1a4643, v21
	v_fmac_f32_e32 v52, 0xbf1a4643, v24
	v_mov_b32_e32 v24, v22
	v_add_f32_e32 v19, v19, v23
	v_fmac_f32_e32 v22, 0xbf4c4adb, v14
	v_mul_f32_e32 v23, 0x3f763a35, v15
	v_add_f32_e32 v13, v25, v13
	v_add_f32_e32 v22, v22, v26
	v_fma_f32 v25, v20, s5, -v23
	v_fmac_f32_e32 v23, 0xbe8c1d8e, v20
	v_mul_f32_e32 v26, 0xbe8c1d8e, v21
	v_fmac_f32_e32 v24, 0x3f4c4adb, v14
	v_add_f32_e32 v23, v23, v27
	v_mov_b32_e32 v27, v26
	v_add_f32_e32 v25, v25, v29
	v_fmac_f32_e32 v26, 0x3f763a35, v14
	v_mul_f32_e32 v29, 0xbeb8f4ab, v15
	v_add_f32_e32 v24, v24, v30
	v_add_f32_e32 v26, v26, v31
	v_fma_f32 v30, v20, s7, -v29
	v_fmac_f32_e32 v29, 0x3f6eb680, v20
	v_mul_f32_e32 v31, 0x3f6eb680, v21
	v_add_f32_e32 v29, v29, v32
	v_mov_b32_e32 v32, v31
	v_add_f32_e32 v30, v30, v33
	v_fmac_f32_e32 v31, 0xbeb8f4ab, v14
	v_mul_f32_e32 v33, 0xbf06c442, v15
	v_add_f32_e32 v31, v31, v35
	v_fma_f32 v35, v20, s9, -v33
	v_fmac_f32_e32 v33, 0xbf59a7d5, v20
	v_fmac_f32_e32 v27, 0xbf763a35, v14
	v_add_f32_e32 v33, v33, v36
	v_mul_f32_e32 v36, 0xbf59a7d5, v21
	v_add_f32_e32 v27, v27, v45
	v_mov_b32_e32 v45, v36
	v_add_f32_e32 v35, v35, v37
	v_fmac_f32_e32 v36, 0xbf06c442, v14
	v_mul_f32_e32 v37, 0x3f7ee86f, v15
	v_add_f32_e32 v36, v36, v38
	v_fma_f32 v38, v20, s0, -v37
	v_fmac_f32_e32 v37, 0x3dbcf732, v20
	v_fmac_f32_e32 v32, 0x3eb8f4ab, v14
	v_add_f32_e32 v37, v37, v39
	v_mul_f32_e32 v39, 0x3dbcf732, v21
	v_add_f32_e32 v32, v32, v46
	v_mov_b32_e32 v46, v39
	v_fmac_f32_e32 v39, 0x3f7ee86f, v14
	v_add_f32_e32 v16, v38, v16
	v_add_f32_e32 v38, v39, v40
	v_mul_f32_e32 v39, 0xbf2c7751, v15
	v_fma_f32 v40, v20, s4, -v39
	v_fmac_f32_e32 v39, 0x3f3d2fb0, v20
	v_fmac_f32_e32 v45, 0x3f06c442, v14
	v_add_f32_e32 v17, v39, v17
	v_mul_f32_e32 v39, 0x3f3d2fb0, v21
	v_add_f32_e32 v45, v45, v47
	v_mov_b32_e32 v47, v39
	v_fmac_f32_e32 v39, 0xbf2c7751, v14
	v_add_f32_e32 v59, v59, v63
	v_add_f32_e32 v39, v39, v41
	v_mul_f32_e32 v41, 0xbe3c28d5, v15
	v_add_f32_e32 v55, v55, v59
	v_add_f32_e32 v40, v40, v42
	v_fma_f32 v42, v20, s10, -v41
	v_fmac_f32_e32 v41, 0xbf7ba420, v20
	v_mul_f32_e32 v15, 0x3f65296c, v15
	v_add_f32_e32 v49, v49, v55
	v_fmac_f32_e32 v46, 0xbf7ee86f, v14
	v_fmac_f32_e32 v47, 0x3f2c7751, v14
	v_add_f32_e32 v41, v41, v43
	v_mul_f32_e32 v43, 0xbf7ba420, v21
	v_add_f32_e32 v42, v42, v44
	v_mov_b32_e32 v44, v15
	v_mul_f32_e32 v21, 0x3ee437d1, v21
	v_fma_f32 v15, v20, s1, -v15
	v_add_f32_e32 v46, v46, v48
	v_add_f32_e32 v47, v47, v49
	v_mov_b32_e32 v48, v43
	v_mov_b32_e32 v49, v21
	v_add_f32_e32 v12, v15, v12
	v_add_f32_e32 v15, v11, v9
	v_sub_f32_e32 v9, v9, v11
	v_fmac_f32_e32 v48, 0x3e3c28d5, v14
	v_fmac_f32_e32 v43, 0xbe3c28d5, v14
	;; [unrolled: 1-line block ×4, first 2 shown]
	v_add_f32_e32 v14, v10, v8
	v_sub_f32_e32 v8, v8, v10
	v_mul_f32_e32 v10, 0xbf06c442, v9
	v_fma_f32 v11, v14, s9, -v10
	v_fmac_f32_e32 v10, 0xbf59a7d5, v14
	v_add_f32_e32 v10, v10, v18
	v_mul_f32_e32 v18, 0xbf59a7d5, v15
	v_fmac_f32_e32 v44, 0x3ee437d1, v20
	v_mov_b32_e32 v20, v18
	v_fmac_f32_e32 v20, 0x3f06c442, v8
	v_add_f32_e32 v11, v11, v19
	v_mul_f32_e32 v19, 0x3f65296c, v9
	v_add_f32_e32 v13, v21, v13
	v_add_f32_e32 v20, v20, v24
	v_fmac_f32_e32 v18, 0xbf06c442, v8
	v_fma_f32 v21, v14, s1, -v19
	v_mul_f32_e32 v24, 0xbf7ee86f, v9
	v_add_f32_e32 v18, v18, v22
	v_fmac_f32_e32 v19, 0x3ee437d1, v14
	v_mul_f32_e32 v22, 0x3ee437d1, v15
	v_add_f32_e32 v21, v21, v25
	v_fma_f32 v25, v14, s0, -v24
	v_fmac_f32_e32 v24, 0x3dbcf732, v14
	v_add_f32_e32 v65, v68, v65
	v_add_f32_e32 v19, v19, v23
	v_mov_b32_e32 v23, v22
	v_fmac_f32_e32 v22, 0x3f65296c, v8
	v_add_f32_e32 v24, v24, v29
	v_mul_f32_e32 v29, 0x3f4c4adb, v9
	v_add_f32_e32 v61, v61, v65
	v_fmac_f32_e32 v23, 0xbf65296c, v8
	v_add_f32_e32 v22, v22, v26
	v_mul_f32_e32 v26, 0x3dbcf732, v15
	v_add_f32_e32 v25, v25, v30
	v_fma_f32 v30, v14, s8, -v29
	v_fmac_f32_e32 v29, 0xbf1a4643, v14
	v_add_f32_e32 v57, v57, v61
	v_add_f32_e32 v23, v23, v27
	v_mov_b32_e32 v27, v26
	v_fmac_f32_e32 v26, 0xbf7ee86f, v8
	v_add_f32_e32 v33, v29, v33
	v_mul_f32_e32 v29, 0xbf1a4643, v15
	v_add_f32_e32 v51, v51, v57
	v_add_f32_e32 v26, v26, v31
	v_mov_b32_e32 v31, v29
	v_fmac_f32_e32 v29, 0x3f4c4adb, v8
	v_add_f32_e32 v64, v64, v67
	v_add_f32_e32 v48, v48, v51
	;; [unrolled: 1-line block ×3, first 2 shown]
	v_mul_f32_e32 v29, 0xbeb8f4ab, v9
	v_add_f32_e32 v60, v60, v64
	v_add_f32_e32 v52, v52, v54
	;; [unrolled: 1-line block ×4, first 2 shown]
	v_fma_f32 v30, v14, s7, -v29
	v_fmac_f32_e32 v29, 0x3f6eb680, v14
	v_add_f32_e32 v56, v56, v60
	v_add_f32_e32 v44, v44, v52
	v_fmac_f32_e32 v31, 0xbf4c4adb, v8
	v_add_f32_e32 v52, v29, v37
	v_mul_f32_e32 v29, 0x3f6eb680, v15
	v_add_f32_e32 v53, v53, v56
	v_add_f32_e32 v45, v31, v45
	v_mov_b32_e32 v31, v29
	v_fmac_f32_e32 v29, 0xbeb8f4ab, v8
	v_add_f32_e32 v49, v49, v53
	v_add_f32_e32 v53, v29, v38
	v_mul_f32_e32 v29, 0xbe3c28d5, v9
	v_add_f32_e32 v16, v30, v16
	v_fma_f32 v30, v14, s10, -v29
	v_fmac_f32_e32 v29, 0xbf7ba420, v14
	v_fmac_f32_e32 v31, 0x3eb8f4ab, v8
	v_add_f32_e32 v17, v29, v17
	v_mul_f32_e32 v29, 0xbf7ba420, v15
	v_add_f32_e32 v46, v31, v46
	v_mov_b32_e32 v31, v29
	v_fmac_f32_e32 v29, 0xbe3c28d5, v8
	v_add_f32_e32 v55, v29, v39
	v_mul_f32_e32 v29, 0x3f2c7751, v9
	v_add_f32_e32 v54, v30, v40
	v_fma_f32 v30, v14, s4, -v29
	v_fmac_f32_e32 v29, 0x3f3d2fb0, v14
	v_fmac_f32_e32 v31, 0x3e3c28d5, v8
	v_add_f32_e32 v41, v29, v41
	v_mul_f32_e32 v29, 0x3f3d2fb0, v15
	v_add_f32_e32 v47, v31, v47
	v_mov_b32_e32 v31, v29
	v_fmac_f32_e32 v29, 0x3f2c7751, v8
	v_mul_f32_e32 v9, 0xbf763a35, v9
	v_add_f32_e32 v43, v29, v43
	v_mov_b32_e32 v29, v9
	v_fmac_f32_e32 v29, 0xbe8c1d8e, v14
	v_mul_f32_e32 v15, 0xbe8c1d8e, v15
	v_sub_f32_e32 v61, v4, v7
	v_add_f32_e32 v44, v29, v44
	v_mov_b32_e32 v29, v15
	v_add_f32_e32 v58, v6, v3
	v_add_f32_e32 v59, v7, v4
	v_sub_f32_e32 v60, v3, v6
	v_mul_f32_e32 v3, 0xbe3c28d5, v61
	v_fmac_f32_e32 v29, 0x3f763a35, v8
	v_fma_f32 v4, v58, s10, -v3
	v_fmac_f32_e32 v3, 0xbf7ba420, v58
	v_mul_f32_e32 v6, 0xbf7ba420, v59
	v_add_f32_e32 v49, v29, v49
	v_add_f32_e32 v29, v3, v10
	v_mov_b32_e32 v3, v6
	v_fmac_f32_e32 v3, 0x3e3c28d5, v60
	v_fmac_f32_e32 v6, 0xbe3c28d5, v60
	v_add_f32_e32 v42, v30, v42
	v_add_f32_e32 v30, v3, v20
	;; [unrolled: 1-line block ×4, first 2 shown]
	v_mul_f32_e32 v6, 0x3eb8f4ab, v61
	v_fmac_f32_e32 v27, 0x3f7ee86f, v8
	v_fmac_f32_e32 v31, 0xbf2c7751, v8
	;; [unrolled: 1-line block ×3, first 2 shown]
	v_fma_f32 v7, v58, s7, -v6
	v_fmac_f32_e32 v6, 0x3f6eb680, v58
	v_mul_f32_e32 v8, 0x3f6eb680, v59
	v_add_f32_e32 v48, v31, v48
	v_add_f32_e32 v31, v6, v19
	v_mov_b32_e32 v6, v8
	v_fmac_f32_e32 v6, 0xbeb8f4ab, v60
	v_fmac_f32_e32 v8, 0x3eb8f4ab, v60
	v_add_f32_e32 v27, v27, v32
	v_fma_f32 v9, v14, s5, -v9
	v_add_f32_e32 v32, v6, v23
	v_add_f32_e32 v6, v7, v21
	;; [unrolled: 1-line block ×3, first 2 shown]
	v_mul_f32_e32 v8, 0xbf06c442, v61
	v_add_f32_e32 v56, v9, v12
	v_fma_f32 v9, v58, s9, -v8
	v_fmac_f32_e32 v8, 0xbf59a7d5, v58
	v_mul_f32_e32 v10, 0xbf59a7d5, v59
	v_add_f32_e32 v35, v8, v24
	v_mov_b32_e32 v8, v10
	v_fmac_f32_e32 v8, 0x3f06c442, v60
	v_fmac_f32_e32 v10, 0xbf06c442, v60
	v_add_f32_e32 v36, v8, v27
	v_add_f32_e32 v8, v9, v25
	;; [unrolled: 1-line block ×3, first 2 shown]
	v_mul_f32_e32 v10, 0x3f2c7751, v61
	v_fma_f32 v11, v58, s4, -v10
	v_fmac_f32_e32 v10, 0x3f3d2fb0, v58
	v_mul_f32_e32 v12, 0x3f3d2fb0, v59
	v_add_f32_e32 v37, v10, v33
	v_mov_b32_e32 v10, v12
	v_fmac_f32_e32 v10, 0xbf2c7751, v60
	v_fmac_f32_e32 v12, 0x3f2c7751, v60
	v_add_f32_e32 v38, v10, v45
	v_add_f32_e32 v10, v11, v50
	;; [unrolled: 1-line block ×3, first 2 shown]
	v_mul_f32_e32 v12, 0xbf4c4adb, v61
	v_add_f32_e32 v57, v15, v13
	v_fma_f32 v13, v58, s8, -v12
	v_fmac_f32_e32 v12, 0xbf1a4643, v58
	v_mul_f32_e32 v14, 0xbf1a4643, v59
	v_add_f32_e32 v39, v12, v52
	v_mov_b32_e32 v12, v14
	v_fmac_f32_e32 v12, 0x3f4c4adb, v60
	v_fmac_f32_e32 v14, 0xbf4c4adb, v60
	v_add_f32_e32 v40, v12, v46
	v_add_f32_e32 v12, v13, v16
	;; [unrolled: 1-line block ×3, first 2 shown]
	v_mul_f32_e32 v14, 0x3f65296c, v61
	v_fma_f32 v15, v58, s1, -v14
	v_fmac_f32_e32 v14, 0x3ee437d1, v58
	v_mul_f32_e32 v16, 0x3ee437d1, v59
	v_add_f32_e32 v22, v14, v17
	v_mov_b32_e32 v14, v16
	v_fmac_f32_e32 v14, 0xbf65296c, v60
	v_fmac_f32_e32 v16, 0x3f65296c, v60
	v_add_f32_e32 v23, v14, v47
	v_add_f32_e32 v14, v15, v54
	;; [unrolled: 1-line block ×3, first 2 shown]
	v_mul_f32_e32 v16, 0xbf763a35, v61
	v_fma_f32 v17, v58, s5, -v16
	v_fmac_f32_e32 v16, 0xbe8c1d8e, v58
	v_mul_f32_e32 v18, 0xbe8c1d8e, v59
	v_add_f32_e32 v24, v16, v41
	v_mov_b32_e32 v16, v18
	v_fmac_f32_e32 v16, 0x3f763a35, v60
	v_fmac_f32_e32 v18, 0xbf763a35, v60
	v_mul_f32_e32 v20, 0x3f7ee86f, v61
	v_mul_f32_e32 v21, 0x3dbcf732, v59
	v_add_f32_e32 v25, v16, v48
	v_add_f32_e32 v16, v17, v42
	;; [unrolled: 1-line block ×3, first 2 shown]
	v_mov_b32_e32 v18, v20
	v_mov_b32_e32 v19, v21
	v_mul_u32_u24_e32 v27, 0x3b8, v28
	v_lshlrev_b32_e32 v26, 3, v34
	v_fmac_f32_e32 v18, 0x3dbcf732, v58
	v_fmac_f32_e32 v19, 0xbf7ee86f, v60
	v_fma_f32 v20, v58, s0, -v20
	v_fmac_f32_e32 v21, 0x3f7ee86f, v60
	v_add3_u32 v27, 0, v27, v26
	v_add_f32_e32 v18, v18, v44
	v_add_f32_e32 v19, v19, v49
	;; [unrolled: 1-line block ×4, first 2 shown]
	ds_write2_b64 v27, v[1:2], v[29:30] offset1:7
	ds_write2_b64 v27, v[31:32], v[35:36] offset0:14 offset1:21
	ds_write2_b64 v27, v[37:38], v[39:40] offset0:28 offset1:35
	;; [unrolled: 1-line block ×7, first 2 shown]
	ds_write_b64 v27, v[3:4] offset:896
	v_mul_hi_u32 v1, v28, s11
	s_waitcnt lgkmcnt(0)
	s_barrier
	v_mul_u32_u24_e32 v1, 17, v1
	v_sub_u32_e32 v35, v28, v1
	v_lshlrev_b32_e32 v1, 7, v35
	global_load_dwordx4 v[6:9], v1, s[28:29]
	global_load_dwordx4 v[10:13], v1, s[28:29] offset:16
	global_load_dwordx4 v[29:32], v1, s[28:29] offset:32
	;; [unrolled: 1-line block ×7, first 2 shown]
	v_mul_u32_u24_e32 v1, 56, v28
	v_add3_u32 v14, 0, v1, v26
	ds_read2_b64 v[1:4], v14 offset1:119
	v_add_u32_e32 v15, 0x800, v14
	ds_read2_b32 v[19:20], v15 offset0:202 offset1:203
	ds_read_b64 v[21:22], v14 offset:1904
	v_add_u32_e32 v15, 0xc00, v14
	ds_read2_b64 v[15:18], v15 offset0:92 offset1:211
	v_add_u32_e32 v23, 0x1400, v14
	ds_read_b64 v[56:57], v14 offset:15232
	s_waitcnt vmcnt(7) lgkmcnt(4)
	v_mul_f32_e32 v60, v7, v4
	v_fmac_f32_e32 v60, v6, v3
	v_mul_f32_e32 v3, v7, v3
	s_waitcnt lgkmcnt(2)
	v_mul_f32_e32 v58, v9, v22
	v_mul_f32_e32 v9, v9, v21
	v_fma_f32 v61, v6, v4, -v3
	s_waitcnt vmcnt(6)
	v_mul_f32_e32 v24, v20, v11
	v_mul_f32_e32 v3, v11, v19
	v_fmac_f32_e32 v58, v8, v21
	v_fma_f32 v59, v8, v22, -v9
	v_fmac_f32_e32 v24, v10, v19
	v_fma_f32 v25, v20, v10, -v3
	ds_read2_b64 v[7:10], v23 offset0:74 offset1:193
	s_waitcnt lgkmcnt(2)
	v_mul_f32_e32 v3, v15, v13
	v_mul_f32_e32 v20, v16, v13
	v_fma_f32 v21, v16, v12, -v3
	v_add_u32_e32 v3, 0x1c00, v14
	s_waitcnt vmcnt(5)
	v_mul_f32_e32 v16, v18, v30
	v_mul_f32_e32 v4, v17, v30
	v_fmac_f32_e32 v20, v15, v12
	v_fmac_f32_e32 v16, v17, v29
	v_fma_f32 v17, v18, v29, -v4
	s_waitcnt lgkmcnt(0)
	v_mul_f32_e32 v12, v8, v32
	v_mul_f32_e32 v4, v7, v32
	ds_read2_b64 v[26:29], v3 offset0:56 offset1:175
	v_add_u32_e32 v6, 0x2400, v14
	v_fmac_f32_e32 v12, v7, v31
	v_fma_f32 v13, v8, v31, -v4
	ds_read2_b64 v[30:33], v6 offset0:38 offset1:157
	s_waitcnt vmcnt(4)
	v_mul_f32_e32 v8, v10, v37
	v_mul_f32_e32 v3, v9, v37
	v_fmac_f32_e32 v8, v9, v36
	v_fma_f32 v9, v10, v36, -v3
	s_waitcnt lgkmcnt(1)
	v_mul_f32_e32 v3, v27, v39
	v_mul_f32_e32 v4, v26, v39
	v_add_u32_e32 v15, 0x2c00, v14
	s_waitcnt vmcnt(3)
	v_mul_f32_e32 v6, v29, v41
	v_mul_f32_e32 v7, v28, v41
	v_fmac_f32_e32 v3, v26, v38
	v_fma_f32 v4, v27, v38, -v4
	v_fmac_f32_e32 v6, v28, v40
	v_fma_f32 v7, v29, v40, -v7
	s_waitcnt lgkmcnt(0)
	v_mul_f32_e32 v10, v31, v43
	v_mul_f32_e32 v11, v30, v43
	ds_read2_b64 v[26:29], v15 offset0:20 offset1:139
	v_add_u32_e32 v22, 0x3000, v14
	s_waitcnt vmcnt(2)
	v_mul_f32_e32 v14, v33, v45
	v_mul_f32_e32 v15, v32, v45
	v_fmac_f32_e32 v10, v30, v42
	v_fma_f32 v11, v31, v42, -v11
	v_fmac_f32_e32 v14, v32, v44
	v_fma_f32 v15, v33, v44, -v15
	ds_read2_b64 v[30:33], v22 offset0:130 offset1:249
	s_waitcnt lgkmcnt(1)
	v_mul_f32_e32 v19, v26, v47
	v_mul_f32_e32 v18, v27, v47
	v_fma_f32 v19, v27, v46, -v19
	v_fmac_f32_e32 v18, v26, v46
	s_waitcnt vmcnt(1) lgkmcnt(0)
	v_mul_f32_e32 v27, v30, v51
	v_mul_f32_e32 v23, v28, v49
	;; [unrolled: 1-line block ×3, first 2 shown]
	v_fma_f32 v27, v31, v50, -v27
	s_waitcnt vmcnt(0)
	v_mul_f32_e32 v31, v56, v55
	v_mul_f32_e32 v22, v29, v49
	v_fma_f32 v23, v29, v48, -v23
	v_mul_f32_e32 v29, v32, v53
	v_fma_f32 v31, v57, v54, -v31
	v_fmac_f32_e32 v22, v28, v48
	v_fmac_f32_e32 v26, v30, v50
	v_mul_f32_e32 v28, v33, v53
	v_fma_f32 v29, v33, v52, -v29
	v_mul_f32_e32 v30, v57, v55
	v_sub_f32_e32 v33, v61, v31
	v_fmac_f32_e32 v30, v56, v54
	v_mul_f32_e32 v36, 0xbeb8f4ab, v33
	v_mul_f32_e32 v38, 0xbf2c7751, v33
	;; [unrolled: 1-line block ×8, first 2 shown]
	v_fmac_f32_e32 v28, v32, v52
	v_add_f32_e32 v32, v60, v30
	v_mov_b32_e32 v50, v33
	v_fma_f32 v37, v32, s7, -v36
	v_fmac_f32_e32 v36, 0x3f6eb680, v32
	v_fma_f32 v39, v32, s4, -v38
	v_fmac_f32_e32 v38, 0x3f3d2fb0, v32
	;; [unrolled: 2-line block ×7, first 2 shown]
	v_fmac_f32_e32 v50, 0xbf7ba420, v32
	v_fma_f32 v32, v32, s10, -v33
	v_add_f32_e32 v33, v61, v31
	v_mul_f32_e32 v52, 0x3f6eb680, v33
	v_mul_f32_e32 v54, 0x3f3d2fb0, v33
	;; [unrolled: 1-line block ×8, first 2 shown]
	v_sub_f32_e32 v51, v60, v30
	v_mov_b32_e32 v53, v52
	v_mov_b32_e32 v55, v54
	;; [unrolled: 1-line block ×8, first 2 shown]
	v_fmac_f32_e32 v53, 0x3eb8f4ab, v51
	v_fmac_f32_e32 v52, 0xbeb8f4ab, v51
	;; [unrolled: 1-line block ×16, first 2 shown]
	v_add_f32_e32 v51, v60, v1
	v_add_f32_e32 v60, v61, v2
	;; [unrolled: 1-line block ×64, first 2 shown]
	v_sub_f32_e32 v29, v59, v29
	v_add_f32_e32 v1, v1, v30
	v_add_f32_e32 v30, v58, v28
	v_mul_f32_e32 v51, 0xbf2c7751, v29
	v_sub_f32_e32 v28, v58, v28
	v_fma_f32 v58, v30, s4, -v51
	v_fmac_f32_e32 v51, 0x3f3d2fb0, v30
	v_add_f32_e32 v36, v51, v36
	v_mul_f32_e32 v51, 0x3f3d2fb0, v31
	v_mov_b32_e32 v59, v51
	v_fmac_f32_e32 v51, 0xbf2c7751, v28
	v_add_f32_e32 v51, v51, v52
	v_mul_f32_e32 v52, 0xbf7ee86f, v29
	v_add_f32_e32 v37, v58, v37
	v_fma_f32 v58, v30, s0, -v52
	v_fmac_f32_e32 v52, 0x3dbcf732, v30
	v_fmac_f32_e32 v59, 0x3f2c7751, v28
	v_add_f32_e32 v38, v52, v38
	v_mul_f32_e32 v52, 0x3dbcf732, v31
	v_add_f32_e32 v53, v59, v53
	v_mov_b32_e32 v59, v52
	v_fmac_f32_e32 v52, 0xbf7ee86f, v28
	v_add_f32_e32 v52, v52, v54
	v_mul_f32_e32 v54, 0xbf4c4adb, v29
	v_add_f32_e32 v39, v58, v39
	v_fma_f32 v58, v30, s8, -v54
	v_fmac_f32_e32 v54, 0xbf1a4643, v30
	v_fmac_f32_e32 v59, 0x3f7ee86f, v28
	v_add_f32_e32 v40, v54, v40
	v_mul_f32_e32 v54, 0xbf1a4643, v31
	v_add_f32_e32 v55, v59, v55
	v_mov_b32_e32 v59, v54
	v_fmac_f32_e32 v54, 0xbf4c4adb, v28
	v_add_f32_e32 v54, v54, v56
	v_mul_f32_e32 v56, 0xbe3c28d5, v29
	v_add_f32_e32 v41, v58, v41
	v_fma_f32 v58, v30, s10, -v56
	v_fmac_f32_e32 v56, 0xbf7ba420, v30
	v_add_f32_e32 v43, v58, v43
	v_mul_f32_e32 v58, 0x3f06c442, v29
	v_fmac_f32_e32 v59, 0x3f4c4adb, v28
	v_add_f32_e32 v42, v56, v42
	v_mul_f32_e32 v56, 0xbf7ba420, v31
	v_fma_f32 v60, v30, s9, -v58
	v_add_f32_e32 v57, v59, v57
	v_mov_b32_e32 v59, v56
	v_fmac_f32_e32 v56, 0xbe3c28d5, v28
	v_fmac_f32_e32 v58, 0xbf59a7d5, v30
	v_add_f32_e32 v45, v60, v45
	v_mul_f32_e32 v60, 0x3f763a35, v29
	v_fmac_f32_e32 v59, 0x3e3c28d5, v28
	v_add_f32_e32 v56, v56, v62
	v_add_f32_e32 v44, v58, v44
	v_mul_f32_e32 v58, 0xbf59a7d5, v31
	v_fma_f32 v62, v30, s5, -v60
	v_add_f32_e32 v59, v59, v61
	v_mov_b32_e32 v61, v58
	v_fmac_f32_e32 v58, 0x3f06c442, v28
	v_fmac_f32_e32 v60, 0xbe8c1d8e, v30
	v_add_f32_e32 v47, v62, v47
	v_mul_f32_e32 v62, 0x3f65296c, v29
	v_fmac_f32_e32 v61, 0xbf06c442, v28
	v_add_f32_e32 v58, v58, v64
	v_add_f32_e32 v46, v60, v46
	v_mul_f32_e32 v60, 0xbe8c1d8e, v31
	v_fma_f32 v64, v30, s1, -v62
	v_mul_f32_e32 v29, 0x3eb8f4ab, v29
	v_add_f32_e32 v61, v61, v63
	v_mov_b32_e32 v63, v60
	v_fmac_f32_e32 v62, 0x3ee437d1, v30
	v_add_f32_e32 v49, v64, v49
	v_mov_b32_e32 v64, v29
	v_fmac_f32_e32 v63, 0xbf763a35, v28
	v_add_f32_e32 v48, v62, v48
	v_mul_f32_e32 v62, 0x3ee437d1, v31
	v_fmac_f32_e32 v64, 0x3f6eb680, v30
	v_mul_f32_e32 v31, 0x3f6eb680, v31
	v_fma_f32 v29, v30, s7, -v29
	v_add_f32_e32 v30, v24, v26
	v_sub_f32_e32 v24, v24, v26
	v_add_f32_e32 v26, v25, v27
	v_sub_f32_e32 v25, v25, v27
	v_add_f32_e32 v63, v63, v65
	v_mov_b32_e32 v65, v62
	v_add_f32_e32 v50, v64, v50
	v_mov_b32_e32 v64, v31
	v_fmac_f32_e32 v31, 0x3eb8f4ab, v28
	v_mul_f32_e32 v27, 0xbf65296c, v25
	v_fmac_f32_e32 v60, 0x3f763a35, v28
	v_fmac_f32_e32 v65, 0xbf65296c, v28
	;; [unrolled: 1-line block ×4, first 2 shown]
	v_add_f32_e32 v28, v31, v33
	v_fma_f32 v31, v30, s1, -v27
	v_fmac_f32_e32 v27, 0x3ee437d1, v30
	v_add_f32_e32 v27, v27, v36
	v_mul_f32_e32 v36, 0xbf4c4adb, v25
	v_add_f32_e32 v29, v29, v32
	v_mul_f32_e32 v32, 0x3ee437d1, v26
	v_add_f32_e32 v31, v31, v37
	v_fma_f32 v37, v30, s8, -v36
	v_fmac_f32_e32 v36, 0xbf1a4643, v30
	v_mov_b32_e32 v33, v32
	v_fmac_f32_e32 v32, 0xbf65296c, v24
	v_add_f32_e32 v36, v36, v38
	v_mul_f32_e32 v38, 0xbf1a4643, v26
	v_add_f32_e32 v32, v32, v51
	v_mov_b32_e32 v51, v38
	v_add_f32_e32 v37, v37, v39
	v_fmac_f32_e32 v38, 0xbf4c4adb, v24
	v_mul_f32_e32 v39, 0x3e3c28d5, v25
	v_add_f32_e32 v38, v38, v52
	v_fma_f32 v52, v30, s10, -v39
	v_fmac_f32_e32 v39, 0xbf7ba420, v30
	v_fmac_f32_e32 v33, 0x3f65296c, v24
	v_add_f32_e32 v39, v39, v40
	v_mul_f32_e32 v40, 0xbf7ba420, v26
	v_add_f32_e32 v33, v33, v53
	v_mov_b32_e32 v53, v40
	v_add_f32_e32 v41, v52, v41
	v_fmac_f32_e32 v40, 0x3e3c28d5, v24
	v_mul_f32_e32 v52, 0x3f763a35, v25
	v_add_f32_e32 v40, v40, v54
	v_fma_f32 v54, v30, s5, -v52
	v_fmac_f32_e32 v52, 0xbe8c1d8e, v30
	;; [unrolled: 11-line block ×4, first 2 shown]
	v_fmac_f32_e32 v55, 0xbf763a35, v24
	v_add_f32_e32 v46, v56, v46
	v_mul_f32_e32 v56, 0x3f6eb680, v26
	v_add_f32_e32 v60, v60, v66
	v_add_f32_e32 v55, v55, v59
	v_mov_b32_e32 v59, v56
	v_add_f32_e32 v47, v58, v47
	v_fmac_f32_e32 v56, 0xbeb8f4ab, v24
	v_mul_f32_e32 v58, 0xbf7ee86f, v25
	v_add_f32_e32 v56, v56, v60
	v_fma_f32 v60, v30, s0, -v58
	v_mul_f32_e32 v25, 0xbf06c442, v25
	v_fmac_f32_e32 v58, 0x3dbcf732, v30
	v_add_f32_e32 v49, v60, v49
	v_mov_b32_e32 v60, v25
	v_fmac_f32_e32 v57, 0xbf2c7751, v24
	v_add_f32_e32 v48, v58, v48
	v_mul_f32_e32 v58, 0x3dbcf732, v26
	v_fmac_f32_e32 v60, 0xbf59a7d5, v30
	v_mul_f32_e32 v26, 0xbf59a7d5, v26
	v_add_f32_e32 v57, v57, v61
	v_mov_b32_e32 v61, v58
	v_add_f32_e32 v50, v60, v50
	v_mov_b32_e32 v60, v26
	v_fmac_f32_e32 v26, 0xbf06c442, v24
	v_fmac_f32_e32 v59, 0x3eb8f4ab, v24
	;; [unrolled: 1-line block ×5, first 2 shown]
	v_add_f32_e32 v24, v26, v28
	v_add_f32_e32 v26, v20, v22
	v_sub_f32_e32 v20, v20, v22
	v_add_f32_e32 v22, v21, v23
	v_sub_f32_e32 v21, v21, v23
	v_mul_f32_e32 v23, 0xbf7ee86f, v21
	v_fma_f32 v28, v26, s0, -v23
	v_fmac_f32_e32 v23, 0x3dbcf732, v26
	v_fma_f32 v25, v30, s9, -v25
	v_add_f32_e32 v23, v23, v27
	v_mul_f32_e32 v27, 0x3dbcf732, v22
	v_add_f32_e32 v25, v25, v29
	v_mov_b32_e32 v29, v27
	v_fmac_f32_e32 v27, 0xbf7ee86f, v20
	v_mul_f32_e32 v30, 0xbe3c28d5, v21
	v_fmac_f32_e32 v29, 0x3f7ee86f, v20
	v_add_f32_e32 v28, v28, v31
	v_add_f32_e32 v27, v27, v32
	v_fma_f32 v31, v26, s10, -v30
	v_fmac_f32_e32 v30, 0xbf7ba420, v26
	v_mul_f32_e32 v32, 0xbf7ba420, v22
	v_add_f32_e32 v29, v29, v33
	v_add_f32_e32 v30, v30, v36
	v_mov_b32_e32 v33, v32
	v_fmac_f32_e32 v32, 0xbe3c28d5, v20
	v_mul_f32_e32 v36, 0x3f763a35, v21
	v_add_f32_e32 v31, v31, v37
	v_add_f32_e32 v32, v32, v38
	v_fma_f32 v37, v26, s5, -v36
	v_fmac_f32_e32 v36, 0xbe8c1d8e, v26
	v_mul_f32_e32 v38, 0xbe8c1d8e, v22
	v_add_f32_e32 v36, v36, v39
	v_mov_b32_e32 v39, v38
	v_fmac_f32_e32 v38, 0x3f763a35, v20
	v_add_f32_e32 v38, v38, v40
	v_mul_f32_e32 v40, 0x3eb8f4ab, v21
	v_add_f32_e32 v37, v37, v41
	v_fma_f32 v41, v26, s7, -v40
	v_fmac_f32_e32 v40, 0x3f6eb680, v26
	v_fmac_f32_e32 v33, 0x3e3c28d5, v20
	v_add_f32_e32 v40, v40, v42
	v_mul_f32_e32 v42, 0x3f6eb680, v22
	v_add_f32_e32 v33, v33, v51
	v_mov_b32_e32 v51, v42
	v_add_f32_e32 v41, v41, v43
	v_fmac_f32_e32 v42, 0x3eb8f4ab, v20
	v_mul_f32_e32 v43, 0xbf65296c, v21
	v_add_f32_e32 v42, v42, v52
	v_fma_f32 v52, v26, s1, -v43
	v_fmac_f32_e32 v43, 0x3ee437d1, v26
	v_fmac_f32_e32 v39, 0xbf763a35, v20
	v_add_f32_e32 v43, v43, v44
	v_mul_f32_e32 v44, 0x3ee437d1, v22
	v_add_f32_e32 v39, v39, v53
	v_mov_b32_e32 v53, v44
	v_add_f32_e32 v45, v52, v45
	v_fmac_f32_e32 v44, 0xbf65296c, v20
	;; [unrolled: 11-line block ×3, first 2 shown]
	v_mul_f32_e32 v54, 0x3f4c4adb, v21
	v_add_f32_e32 v52, v52, v56
	v_fma_f32 v56, v26, s8, -v54
	v_mul_f32_e32 v21, 0x3f2c7751, v21
	v_fmac_f32_e32 v54, 0xbf1a4643, v26
	v_add_f32_e32 v49, v56, v49
	v_mov_b32_e32 v56, v21
	v_fmac_f32_e32 v53, 0x3f65296c, v20
	v_add_f32_e32 v48, v54, v48
	v_mul_f32_e32 v54, 0xbf1a4643, v22
	v_fmac_f32_e32 v56, 0x3f3d2fb0, v26
	v_mul_f32_e32 v22, 0x3f3d2fb0, v22
	v_add_f32_e32 v53, v53, v57
	v_mov_b32_e32 v57, v54
	v_add_f32_e32 v50, v56, v50
	v_mov_b32_e32 v56, v22
	v_fmac_f32_e32 v22, 0x3f2c7751, v20
	v_fmac_f32_e32 v55, 0x3f06c442, v20
	;; [unrolled: 1-line block ×5, first 2 shown]
	v_add_f32_e32 v20, v22, v24
	v_add_f32_e32 v22, v16, v18
	v_sub_f32_e32 v16, v16, v18
	v_add_f32_e32 v18, v17, v19
	v_sub_f32_e32 v17, v17, v19
	v_mul_f32_e32 v19, 0xbf763a35, v17
	v_fma_f32 v24, v22, s5, -v19
	v_fmac_f32_e32 v19, 0xbe8c1d8e, v22
	v_fma_f32 v21, v26, s4, -v21
	v_add_f32_e32 v19, v19, v23
	v_mul_f32_e32 v23, 0xbe8c1d8e, v18
	v_add_f32_e32 v21, v21, v25
	v_mov_b32_e32 v25, v23
	v_fmac_f32_e32 v23, 0xbf763a35, v16
	v_mul_f32_e32 v26, 0x3f06c442, v17
	v_fmac_f32_e32 v25, 0x3f763a35, v16
	v_add_f32_e32 v24, v24, v28
	v_add_f32_e32 v23, v23, v27
	v_fma_f32 v27, v22, s9, -v26
	v_fmac_f32_e32 v26, 0xbf59a7d5, v22
	v_mul_f32_e32 v28, 0xbf59a7d5, v18
	v_add_f32_e32 v25, v25, v29
	v_add_f32_e32 v26, v26, v30
	v_mov_b32_e32 v29, v28
	v_fmac_f32_e32 v28, 0x3f06c442, v16
	v_mul_f32_e32 v30, 0x3f2c7751, v17
	v_fmac_f32_e32 v29, 0xbf06c442, v16
	v_add_f32_e32 v27, v27, v31
	v_add_f32_e32 v28, v28, v32
	v_fma_f32 v31, v22, s4, -v30
	v_fmac_f32_e32 v30, 0x3f3d2fb0, v22
	v_mul_f32_e32 v32, 0x3f3d2fb0, v18
	v_add_f32_e32 v29, v29, v33
	;; [unrolled: 11-line block ×3, first 2 shown]
	v_add_f32_e32 v36, v36, v40
	v_mov_b32_e32 v39, v38
	v_fmac_f32_e32 v38, 0xbf65296c, v16
	v_mul_f32_e32 v40, 0xbe3c28d5, v17
	v_add_f32_e32 v37, v37, v41
	v_add_f32_e32 v38, v38, v42
	v_fma_f32 v41, v22, s10, -v40
	v_fmac_f32_e32 v40, 0xbf7ba420, v22
	v_mul_f32_e32 v42, 0xbf7ba420, v18
	v_add_f32_e32 v40, v40, v43
	v_mov_b32_e32 v43, v42
	v_fmac_f32_e32 v42, 0xbe3c28d5, v16
	v_add_f32_e32 v42, v42, v44
	v_mul_f32_e32 v44, 0x3f7ee86f, v17
	v_add_f32_e32 v41, v41, v45
	v_fma_f32 v45, v22, s0, -v44
	v_fmac_f32_e32 v44, 0x3dbcf732, v22
	v_fmac_f32_e32 v39, 0x3f65296c, v16
	v_add_f32_e32 v44, v44, v46
	v_mul_f32_e32 v46, 0x3dbcf732, v18
	v_add_f32_e32 v39, v39, v51
	v_mov_b32_e32 v51, v46
	v_add_f32_e32 v45, v45, v47
	v_fmac_f32_e32 v46, 0x3f7ee86f, v16
	v_mul_f32_e32 v47, 0xbeb8f4ab, v17
	v_add_f32_e32 v46, v46, v52
	v_fma_f32 v52, v22, s7, -v47
	v_mul_f32_e32 v17, 0xbf4c4adb, v17
	v_fmac_f32_e32 v47, 0x3f6eb680, v22
	v_add_f32_e32 v49, v52, v49
	v_mov_b32_e32 v52, v17
	v_fmac_f32_e32 v43, 0x3e3c28d5, v16
	v_add_f32_e32 v47, v47, v48
	v_mul_f32_e32 v48, 0x3f6eb680, v18
	v_fmac_f32_e32 v52, 0xbf1a4643, v22
	v_mul_f32_e32 v18, 0xbf1a4643, v18
	v_add_f32_e32 v43, v43, v53
	v_mov_b32_e32 v53, v48
	v_add_f32_e32 v50, v52, v50
	v_mov_b32_e32 v52, v18
	v_fmac_f32_e32 v18, 0xbf4c4adb, v16
	v_fmac_f32_e32 v51, 0xbf7ee86f, v16
	;; [unrolled: 1-line block ×5, first 2 shown]
	v_add_f32_e32 v16, v18, v20
	v_add_f32_e32 v20, v13, v15
	v_sub_f32_e32 v13, v13, v15
	v_add_f32_e32 v18, v12, v14
	v_sub_f32_e32 v12, v12, v14
	v_mul_f32_e32 v14, 0xbf4c4adb, v13
	v_fma_f32 v15, v18, s8, -v14
	v_fmac_f32_e32 v14, 0xbf1a4643, v18
	v_fma_f32 v17, v22, s8, -v17
	v_add_f32_e32 v14, v14, v19
	v_mul_f32_e32 v19, 0xbf1a4643, v20
	v_add_f32_e32 v17, v17, v21
	v_mov_b32_e32 v21, v19
	v_fmac_f32_e32 v19, 0xbf4c4adb, v12
	v_mul_f32_e32 v22, 0x3f763a35, v13
	v_fmac_f32_e32 v21, 0x3f4c4adb, v12
	v_add_f32_e32 v15, v15, v24
	v_add_f32_e32 v19, v19, v23
	v_fma_f32 v23, v18, s5, -v22
	v_fmac_f32_e32 v22, 0xbe8c1d8e, v18
	v_mul_f32_e32 v24, 0xbe8c1d8e, v20
	v_add_f32_e32 v21, v21, v25
	v_add_f32_e32 v22, v22, v26
	v_mov_b32_e32 v25, v24
	v_fmac_f32_e32 v24, 0x3f763a35, v12
	v_mul_f32_e32 v26, 0xbeb8f4ab, v13
	v_fmac_f32_e32 v25, 0xbf763a35, v12
	v_add_f32_e32 v23, v23, v27
	v_add_f32_e32 v24, v24, v28
	v_fma_f32 v27, v18, s7, -v26
	v_fmac_f32_e32 v26, 0x3f6eb680, v18
	v_mul_f32_e32 v28, 0x3f6eb680, v20
	v_add_f32_e32 v25, v25, v29
	;; [unrolled: 11-line block ×4, first 2 shown]
	v_add_f32_e32 v36, v36, v40
	v_mov_b32_e32 v39, v38
	v_fmac_f32_e32 v38, 0x3f7ee86f, v12
	v_mul_f32_e32 v40, 0xbf2c7751, v13
	v_add_f32_e32 v62, v62, v68
	v_fmac_f32_e32 v39, 0xbf7ee86f, v12
	v_add_f32_e32 v37, v37, v41
	v_add_f32_e32 v38, v38, v42
	v_fma_f32 v41, v18, s4, -v40
	v_fmac_f32_e32 v40, 0x3f3d2fb0, v18
	v_mul_f32_e32 v42, 0x3f3d2fb0, v20
	v_add_f32_e32 v58, v58, v62
	v_add_f32_e32 v39, v39, v43
	;; [unrolled: 1-line block ×3, first 2 shown]
	v_mov_b32_e32 v43, v42
	v_fmac_f32_e32 v42, 0xbf2c7751, v12
	v_mul_f32_e32 v44, 0xbe3c28d5, v13
	v_add_f32_e32 v54, v54, v58
	v_add_f32_e32 v41, v41, v45
	;; [unrolled: 1-line block ×3, first 2 shown]
	v_fma_f32 v45, v18, s10, -v44
	v_fmac_f32_e32 v44, 0xbf7ba420, v18
	v_mul_f32_e32 v46, 0xbf7ba420, v20
	v_add_f32_e32 v48, v48, v54
	v_add_f32_e32 v44, v44, v47
	v_mov_b32_e32 v47, v46
	v_fmac_f32_e32 v46, 0xbe3c28d5, v12
	v_mul_f32_e32 v13, 0x3f65296c, v13
	v_add_f32_e32 v46, v46, v48
	v_mov_b32_e32 v48, v13
	v_mul_f32_e32 v20, 0x3ee437d1, v20
	v_fma_f32 v13, v18, s1, -v13
	v_add_f32_e32 v45, v45, v49
	v_mov_b32_e32 v49, v20
	v_add_f32_e32 v13, v13, v17
	v_fmac_f32_e32 v20, 0x3f65296c, v12
	v_add_f32_e32 v17, v9, v11
	v_sub_f32_e32 v9, v9, v11
	v_fmac_f32_e32 v43, 0x3f2c7751, v12
	v_fmac_f32_e32 v47, 0x3e3c28d5, v12
	;; [unrolled: 1-line block ×3, first 2 shown]
	v_add_f32_e32 v12, v20, v16
	v_add_f32_e32 v16, v8, v10
	v_sub_f32_e32 v8, v8, v10
	v_mul_f32_e32 v10, 0xbf06c442, v9
	v_fma_f32 v11, v16, s9, -v10
	v_fmac_f32_e32 v10, 0xbf59a7d5, v16
	v_add_f32_e32 v10, v10, v14
	v_mul_f32_e32 v14, 0xbf59a7d5, v17
	v_fmac_f32_e32 v48, 0x3ee437d1, v18
	v_mov_b32_e32 v18, v14
	v_fmac_f32_e32 v18, 0x3f06c442, v8
	v_mul_f32_e32 v20, 0x3ee437d1, v17
	v_add_f32_e32 v18, v18, v21
	v_mov_b32_e32 v21, v20
	v_add_f32_e32 v59, v59, v63
	v_add_f32_e32 v11, v11, v15
	v_fmac_f32_e32 v14, 0xbf06c442, v8
	v_mul_f32_e32 v15, 0x3f65296c, v9
	v_fmac_f32_e32 v21, 0xbf65296c, v8
	v_add_f32_e32 v55, v55, v59
	v_add_f32_e32 v48, v48, v50
	;; [unrolled: 1-line block ×3, first 2 shown]
	v_fma_f32 v19, v16, s1, -v15
	v_fmac_f32_e32 v15, 0x3ee437d1, v16
	v_add_f32_e32 v50, v21, v25
	v_mul_f32_e32 v21, 0xbf7ee86f, v9
	v_add_f32_e32 v51, v51, v55
	v_add_f32_e32 v15, v15, v22
	v_fma_f32 v22, v16, s0, -v21
	v_fmac_f32_e32 v21, 0x3dbcf732, v16
	v_add_f32_e32 v64, v64, v69
	v_add_f32_e32 v43, v43, v51
	;; [unrolled: 1-line block ×3, first 2 shown]
	v_mul_f32_e32 v21, 0x3dbcf732, v17
	v_add_f32_e32 v60, v60, v64
	v_add_f32_e32 v19, v19, v23
	v_mov_b32_e32 v23, v21
	v_fmac_f32_e32 v21, 0xbf7ee86f, v8
	v_add_f32_e32 v56, v56, v60
	v_add_f32_e32 v28, v21, v28
	v_mul_f32_e32 v21, 0x3f4c4adb, v9
	v_add_f32_e32 v52, v52, v56
	v_add_f32_e32 v27, v22, v27
	v_fma_f32 v22, v16, s8, -v21
	v_fmac_f32_e32 v21, 0xbf1a4643, v16
	v_add_f32_e32 v49, v49, v52
	v_fmac_f32_e32 v23, 0x3f7ee86f, v8
	v_add_f32_e32 v52, v21, v30
	v_mul_f32_e32 v21, 0xbf1a4643, v17
	v_add_f32_e32 v65, v65, v67
	v_add_f32_e32 v29, v23, v29
	v_mov_b32_e32 v23, v21
	v_fmac_f32_e32 v21, 0x3f4c4adb, v8
	v_add_f32_e32 v61, v61, v65
	v_add_f32_e32 v54, v21, v32
	v_mul_f32_e32 v21, 0xbeb8f4ab, v9
	v_add_f32_e32 v57, v57, v61
	v_add_f32_e32 v31, v22, v31
	v_fma_f32 v22, v16, s7, -v21
	v_fmac_f32_e32 v21, 0x3f6eb680, v16
	v_add_f32_e32 v53, v53, v57
	v_fmac_f32_e32 v23, 0xbf4c4adb, v8
	v_add_f32_e32 v55, v21, v36
	v_mul_f32_e32 v21, 0x3f6eb680, v17
	v_add_f32_e32 v47, v47, v53
	v_add_f32_e32 v53, v23, v33
	v_mov_b32_e32 v23, v21
	v_fmac_f32_e32 v21, 0xbeb8f4ab, v8
	v_add_f32_e32 v57, v21, v38
	v_mul_f32_e32 v21, 0xbe3c28d5, v9
	v_add_f32_e32 v56, v22, v37
	v_fma_f32 v22, v16, s10, -v21
	v_fmac_f32_e32 v21, 0xbf7ba420, v16
	v_fmac_f32_e32 v23, 0x3eb8f4ab, v8
	v_add_f32_e32 v40, v21, v40
	v_mul_f32_e32 v21, 0xbf7ba420, v17
	v_add_f32_e32 v39, v23, v39
	v_mov_b32_e32 v23, v21
	v_fmac_f32_e32 v21, 0xbe3c28d5, v8
	v_add_f32_e32 v42, v21, v42
	v_mul_f32_e32 v21, 0x3f2c7751, v9
	v_add_f32_e32 v41, v22, v41
	v_fma_f32 v22, v16, s4, -v21
	v_fmac_f32_e32 v21, 0x3f3d2fb0, v16
	v_fmac_f32_e32 v23, 0x3e3c28d5, v8
	v_add_f32_e32 v44, v21, v44
	v_mul_f32_e32 v21, 0x3f3d2fb0, v17
	v_add_f32_e32 v43, v23, v43
	v_mov_b32_e32 v23, v21
	v_fmac_f32_e32 v23, 0xbf2c7751, v8
	v_sub_f32_e32 v60, v4, v7
	v_add_f32_e32 v47, v23, v47
	v_add_f32_e32 v58, v3, v6
	v_sub_f32_e32 v23, v3, v6
	v_mul_f32_e32 v3, 0xbe3c28d5, v60
	v_fmac_f32_e32 v20, 0x3f65296c, v8
	v_add_f32_e32 v59, v4, v7
	v_fma_f32 v4, v58, s10, -v3
	v_fmac_f32_e32 v3, 0xbf7ba420, v58
	v_add_f32_e32 v20, v20, v24
	v_fmac_f32_e32 v21, 0x3f2c7751, v8
	v_mul_f32_e32 v9, 0xbf763a35, v9
	v_add_f32_e32 v24, v3, v10
	v_mul_f32_e32 v3, 0xbf7ba420, v59
	v_add_f32_e32 v46, v21, v46
	v_mov_b32_e32 v21, v9
	v_mov_b32_e32 v6, v3
	v_fmac_f32_e32 v3, 0xbe3c28d5, v23
	v_fmac_f32_e32 v21, 0xbe8c1d8e, v16
	v_mul_f32_e32 v17, 0xbe8c1d8e, v17
	v_add_f32_e32 v37, v3, v14
	v_mul_f32_e32 v3, 0x3eb8f4ab, v60
	v_add_f32_e32 v48, v21, v48
	v_mov_b32_e32 v21, v17
	v_fmac_f32_e32 v17, 0xbf763a35, v8
	v_add_f32_e32 v36, v4, v11
	v_fma_f32 v4, v58, s7, -v3
	v_fmac_f32_e32 v3, 0x3f6eb680, v58
	v_add_f32_e32 v45, v22, v45
	v_add_f32_e32 v22, v17, v12
	v_fmac_f32_e32 v6, 0x3e3c28d5, v23
	v_add_f32_e32 v17, v3, v15
	v_mul_f32_e32 v3, 0x3f6eb680, v59
	v_add_f32_e32 v25, v6, v18
	v_mov_b32_e32 v6, v3
	v_fmac_f32_e32 v3, 0x3eb8f4ab, v23
	v_add_f32_e32 v33, v3, v20
	v_mul_f32_e32 v3, 0xbf06c442, v60
	v_add_f32_e32 v30, v4, v19
	v_fma_f32 v4, v58, s9, -v3
	v_fmac_f32_e32 v3, 0xbf59a7d5, v58
	v_fmac_f32_e32 v6, 0xbeb8f4ab, v23
	v_add_f32_e32 v18, v3, v51
	v_mul_f32_e32 v3, 0xbf59a7d5, v59
	v_add_f32_e32 v26, v6, v50
	v_mov_b32_e32 v6, v3
	v_fmac_f32_e32 v3, 0xbf06c442, v23
	v_fmac_f32_e32 v6, 0x3f06c442, v23
	v_add_f32_e32 v32, v3, v28
	v_mul_f32_e32 v3, 0x3f2c7751, v60
	v_add_f32_e32 v38, v6, v29
	v_add_f32_e32 v29, v4, v27
	v_fma_f32 v4, v58, s4, -v3
	v_mul_f32_e32 v6, 0x3f3d2fb0, v59
	v_mov_b32_e32 v7, v6
	v_add_f32_e32 v28, v4, v31
	v_fmac_f32_e32 v6, 0x3f2c7751, v23
	v_mul_f32_e32 v4, 0xbf4c4adb, v60
	v_add_f32_e32 v31, v6, v54
	v_fma_f32 v6, v58, s8, -v4
	v_fmac_f32_e32 v21, 0x3f763a35, v8
	v_fma_f32 v9, v16, s5, -v9
	v_fmac_f32_e32 v7, 0xbf2c7751, v23
	v_mul_f32_e32 v8, 0xbf1a4643, v59
	v_add_f32_e32 v20, v6, v56
	v_mul_f32_e32 v6, 0x3f65296c, v60
	v_add_f32_e32 v49, v21, v49
	v_add_f32_e32 v21, v9, v13
	;; [unrolled: 1-line block ×3, first 2 shown]
	v_mov_b32_e32 v7, v8
	v_fmac_f32_e32 v8, 0xbf4c4adb, v23
	v_fma_f32 v9, v58, s1, -v6
	v_fmac_f32_e32 v6, 0x3ee437d1, v58
	v_add_f32_e32 v27, v8, v57
	v_add_f32_e32 v8, v6, v40
	v_mul_f32_e32 v6, 0x3ee437d1, v59
	v_mov_b32_e32 v10, v6
	v_fmac_f32_e32 v6, 0x3f65296c, v23
	v_add_f32_e32 v19, v6, v42
	v_mul_lo_u32 v42, v35, v5
	v_fmac_f32_e32 v7, 0x3f4c4adb, v23
	v_mul_f32_e32 v11, 0xbe8c1d8e, v59
	v_add_f32_e32 v7, v7, v39
	v_add_f32_e32 v14, v9, v41
	v_mov_b32_e32 v9, v11
	v_fmac_f32_e32 v11, 0xbf763a35, v23
	v_mul_f32_e32 v39, 0x3dbcf732, v59
	v_fmac_f32_e32 v10, 0xbf65296c, v23
	v_mul_f32_e32 v6, 0xbf763a35, v60
	v_add_f32_e32 v16, v11, v46
	v_mov_b32_e32 v11, v39
	v_fmac_f32_e32 v39, 0x3f7ee86f, v23
	v_add_f32_e32 v12, v10, v43
	v_fma_f32 v10, v58, s5, -v6
	v_mul_f32_e32 v40, 0x3f7ee86f, v60
	v_add_f32_e32 v41, v39, v22
	v_lshrrev_b32_e32 v22, 3, v42
	v_add_f32_e32 v13, v10, v45
	v_mov_b32_e32 v10, v40
	v_fma_f32 v40, v58, s0, -v40
	v_and_b32_e32 v22, 0x1f8, v22
	s_add_i32 s0, 0, 0x3f38
	v_fmac_f32_e32 v9, 0x3f763a35, v23
	v_fmac_f32_e32 v11, 0xbf7ee86f, v23
	v_add_f32_e32 v40, v40, v21
	v_and_b32_e32 v21, 63, v42
	v_add_u32_e32 v23, s0, v22
	v_lshrrev_b32_e32 v22, 9, v42
	v_fmac_f32_e32 v6, 0xbe8c1d8e, v58
	v_lshl_add_u32 v21, v21, 3, 0
	v_and_b32_e32 v22, 0x1f8, v22
	v_lshl_add_u32 v39, v5, 4, v5
	v_add_f32_e32 v6, v6, v44
	v_add_u32_e32 v44, s0, v22
	v_add_u32_e32 v5, v42, v39
	ds_read_b64 v[21:22], v21 offset:16184
	ds_read_b64 v[42:43], v23 offset:512
	v_and_b32_e32 v23, 63, v5
	v_add_f32_e32 v9, v9, v47
	v_lshl_add_u32 v23, v23, 3, 0
	ds_read_b64 v[44:45], v44 offset:1024
	ds_read_b64 v[46:47], v23 offset:16184
	s_waitcnt lgkmcnt(2)
	v_mul_f32_e32 v23, v22, v43
	v_fma_f32 v23, v21, v42, -v23
	v_mul_f32_e32 v21, v21, v43
	v_fmac_f32_e32 v21, v22, v42
	s_waitcnt lgkmcnt(1)
	v_mul_f32_e32 v22, v21, v45
	v_fma_f32 v22, v44, v23, -v22
	v_mul_f32_e32 v23, v23, v45
	v_fmac_f32_e32 v23, v44, v21
	v_mul_f32_e32 v21, v2, v23
	v_fmac_f32_e32 v21, v1, v22
	v_mul_f32_e32 v1, v1, v23
	v_fma_f32 v22, v2, v22, -v1
	v_lshrrev_b32_e32 v2, 9, v5
	v_lshrrev_b32_e32 v1, 3, v5
	v_and_b32_e32 v2, 0x1f8, v2
	v_add_u32_e32 v5, v5, v39
	v_and_b32_e32 v1, 0x1f8, v1
	v_add_u32_e32 v23, s0, v2
	;; [unrolled: 2-line block ×3, first 2 shown]
	v_lshl_add_u32 v44, v2, 3, 0
	v_lshrrev_b32_e32 v2, 3, v5
	v_and_b32_e32 v42, 0x1f8, v2
	ds_read_b64 v[1:2], v1 offset:512
	v_fmac_f32_e32 v10, 0x3dbcf732, v58
	v_add_f32_e32 v10, v10, v48
	v_add_u32_e32 v48, s0, v42
	v_add_f32_e32 v11, v11, v49
	ds_read_b64 v[42:43], v23 offset:1024
	ds_read_b64 v[44:45], v44 offset:16184
	;; [unrolled: 1-line block ×3, first 2 shown]
	s_waitcnt lgkmcnt(3)
	v_mul_f32_e32 v23, v47, v2
	v_mul_f32_e32 v2, v46, v2
	v_fma_f32 v23, v46, v1, -v23
	v_fmac_f32_e32 v2, v47, v1
	s_waitcnt lgkmcnt(2)
	v_mul_f32_e32 v1, v2, v43
	v_mul_f32_e32 v43, v23, v43
	v_fmac_f32_e32 v43, v42, v2
	v_fma_f32 v1, v42, v23, -v1
	v_mul_f32_e32 v23, v25, v43
	v_mul_f32_e32 v2, v24, v43
	v_fmac_f32_e32 v23, v24, v1
	v_fma_f32 v24, v25, v1, -v2
	v_lshrrev_b32_e32 v1, 9, v5
	s_waitcnt lgkmcnt(0)
	v_mul_f32_e32 v2, v45, v49
	v_add_u32_e32 v5, v5, v39
	v_fma_f32 v25, v44, v48, -v2
	v_and_b32_e32 v2, 63, v5
	v_lshl_add_u32 v42, v2, 3, 0
	v_lshrrev_b32_e32 v2, 3, v5
	v_and_b32_e32 v1, 0x1f8, v1
	v_and_b32_e32 v2, 0x1f8, v2
	v_add_u32_e32 v1, s0, v1
	v_mul_f32_e32 v49, v44, v49
	v_add_u32_e32 v44, s0, v2
	v_lshrrev_b32_e32 v2, 9, v5
	v_and_b32_e32 v43, 0x1f8, v2
	ds_read_b64 v[1:2], v1 offset:1024
	v_add_u32_e32 v46, s0, v43
	v_fmac_f32_e32 v49, v45, v48
	ds_read_b64 v[42:43], v42 offset:16184
	ds_read_b64 v[44:45], v44 offset:512
	;; [unrolled: 1-line block ×3, first 2 shown]
	v_fmac_f32_e32 v3, 0x3f3d2fb0, v58
	s_waitcnt lgkmcnt(3)
	v_mul_f32_e32 v48, v49, v2
	v_mul_f32_e32 v2, v25, v2
	v_fmac_f32_e32 v2, v1, v49
	v_fma_f32 v48, v1, v25, -v48
	v_mul_f32_e32 v25, v26, v2
	v_mul_f32_e32 v1, v17, v2
	s_waitcnt lgkmcnt(1)
	v_mul_f32_e32 v2, v42, v45
	v_fma_f32 v26, v26, v48, -v1
	v_mul_f32_e32 v1, v43, v45
	v_fmac_f32_e32 v2, v43, v44
	v_fmac_f32_e32 v25, v17, v48
	v_fma_f32 v1, v42, v44, -v1
	s_waitcnt lgkmcnt(0)
	v_mul_f32_e32 v17, v2, v47
	v_fma_f32 v42, v46, v1, -v17
	v_mul_f32_e32 v1, v1, v47
	v_fmac_f32_e32 v1, v46, v2
	v_mul_f32_e32 v17, v38, v1
	v_mul_f32_e32 v1, v18, v1
	v_fmac_f32_e32 v17, v18, v42
	v_fma_f32 v18, v38, v42, -v1
	v_add_u32_e32 v1, v5, v39
	v_and_b32_e32 v2, 63, v1
	v_lshrrev_b32_e32 v5, 3, v1
	v_lshl_add_u32 v2, v2, 3, 0
	v_and_b32_e32 v5, 0x1f8, v5
	v_add_u32_e32 v5, s0, v5
	v_lshrrev_b32_e32 v38, 9, v1
	v_add_u32_e32 v48, v1, v39
	ds_read_b64 v[1:2], v2 offset:16184
	ds_read_b64 v[42:43], v5 offset:512
	v_and_b32_e32 v38, 0x1f8, v38
	v_add_u32_e32 v38, s0, v38
	v_and_b32_e32 v5, 63, v48
	v_lshl_add_u32 v5, v5, 3, 0
	ds_read_b64 v[44:45], v38 offset:1024
	ds_read_b64 v[46:47], v5 offset:16184
	s_waitcnt lgkmcnt(2)
	v_mul_f32_e32 v5, v2, v43
	v_fma_f32 v5, v1, v42, -v5
	v_mul_f32_e32 v1, v1, v43
	v_fmac_f32_e32 v1, v2, v42
	s_waitcnt lgkmcnt(1)
	v_mul_f32_e32 v2, v1, v45
	v_fma_f32 v2, v44, v5, -v2
	v_mul_f32_e32 v5, v5, v45
	v_fmac_f32_e32 v5, v44, v1
	v_add_f32_e32 v3, v3, v52
	v_mul_f32_e32 v1, v15, v5
	v_fmac_f32_e32 v1, v3, v2
	v_mul_f32_e32 v3, v3, v5
	v_fma_f32 v2, v15, v2, -v3
	v_lshrrev_b32_e32 v3, 3, v48
	v_and_b32_e32 v3, 0x1f8, v3
	v_add_u32_e32 v15, v48, v39
	v_add_u32_e32 v3, s0, v3
	v_lshrrev_b32_e32 v42, 3, v15
	v_and_b32_e32 v44, 0x1f8, v42
	ds_read_b64 v[42:43], v3 offset:512
	v_lshrrev_b32_e32 v5, 9, v48
	v_and_b32_e32 v5, 0x1f8, v5
	v_add_u32_e32 v5, s0, v5
	v_and_b32_e32 v38, 63, v15
	v_lshl_add_u32 v38, v38, 3, 0
	v_add_u32_e32 v3, s0, v44
	ds_read_b64 v[44:45], v5 offset:1024
	ds_read_b64 v[48:49], v38 offset:16184
	;; [unrolled: 1-line block ×3, first 2 shown]
	s_waitcnt lgkmcnt(3)
	v_mul_f32_e32 v3, v47, v43
	v_fma_f32 v3, v46, v42, -v3
	v_mul_f32_e32 v5, v46, v43
	v_fmac_f32_e32 v5, v47, v42
	s_waitcnt lgkmcnt(2)
	v_mul_f32_e32 v42, v3, v45
	v_fmac_f32_e32 v4, 0xbf1a4643, v58
	v_mul_f32_e32 v38, v5, v45
	v_fmac_f32_e32 v42, v44, v5
	v_add_f32_e32 v4, v4, v55
	v_fma_f32 v38, v44, v3, -v38
	v_mul_f32_e32 v3, v7, v42
	v_lshrrev_b32_e32 v5, 9, v15
	v_add_u32_e32 v15, v15, v39
	v_fmac_f32_e32 v3, v4, v38
	v_mul_f32_e32 v4, v4, v42
	v_and_b32_e32 v42, 63, v15
	v_lshl_add_u32 v44, v42, 3, 0
	v_lshrrev_b32_e32 v42, 3, v15
	v_and_b32_e32 v5, 0x1f8, v5
	v_and_b32_e32 v42, 0x1f8, v42
	v_add_u32_e32 v5, s0, v5
	v_add_u32_e32 v46, s0, v42
	v_lshrrev_b32_e32 v42, 9, v15
	v_and_b32_e32 v45, 0x1f8, v42
	ds_read_b64 v[42:43], v5 offset:1024
	v_fma_f32 v4, v7, v38, -v4
	s_waitcnt lgkmcnt(1)
	v_mul_f32_e32 v7, v49, v51
	v_mul_f32_e32 v38, v48, v51
	v_fma_f32 v7, v48, v50, -v7
	v_fmac_f32_e32 v38, v49, v50
	v_add_u32_e32 v5, s0, v45
	ds_read_b64 v[44:45], v44 offset:16184
	ds_read_b64 v[46:47], v46 offset:512
	ds_read_b64 v[48:49], v5 offset:1024
	s_waitcnt lgkmcnt(3)
	v_mul_f32_e32 v5, v38, v43
	v_mul_f32_e32 v43, v7, v43
	v_fmac_f32_e32 v43, v42, v38
	v_fma_f32 v5, v42, v7, -v5
	v_mul_f32_e32 v7, v12, v43
	v_fmac_f32_e32 v7, v8, v5
	v_mul_f32_e32 v8, v8, v43
	v_fma_f32 v8, v12, v5, -v8
	s_waitcnt lgkmcnt(1)
	v_mul_f32_e32 v5, v45, v47
	v_fma_f32 v5, v44, v46, -v5
	v_mul_f32_e32 v12, v44, v47
	v_fmac_f32_e32 v12, v45, v46
	s_waitcnt lgkmcnt(0)
	v_mul_f32_e32 v42, v5, v49
	v_mul_f32_e32 v38, v12, v49
	v_fmac_f32_e32 v42, v48, v12
	v_fma_f32 v38, v48, v5, -v38
	v_mul_f32_e32 v5, v9, v42
	v_fmac_f32_e32 v5, v6, v38
	v_mul_f32_e32 v6, v6, v42
	v_fma_f32 v6, v9, v38, -v6
	v_add_u32_e32 v9, v15, v39
	v_and_b32_e32 v12, 63, v9
	v_lshrrev_b32_e32 v15, 3, v9
	v_lshl_add_u32 v12, v12, 3, 0
	v_and_b32_e32 v15, 0x1f8, v15
	v_add_u32_e32 v15, s0, v15
	v_lshrrev_b32_e32 v38, 9, v9
	ds_read_b64 v[42:43], v12 offset:16184
	ds_read_b64 v[44:45], v15 offset:512
	v_and_b32_e32 v38, 0x1f8, v38
	v_add_u32_e32 v50, v9, v39
	v_add_u32_e32 v38, s0, v38
	v_and_b32_e32 v9, 63, v50
	v_lshl_add_u32 v9, v9, 3, 0
	ds_read_b64 v[46:47], v38 offset:1024
	ds_read_b64 v[48:49], v9 offset:16184
	s_waitcnt lgkmcnt(2)
	v_mul_f32_e32 v9, v43, v45
	v_fma_f32 v9, v42, v44, -v9
	v_mul_f32_e32 v12, v42, v45
	v_fmac_f32_e32 v12, v43, v44
	s_waitcnt lgkmcnt(1)
	v_mul_f32_e32 v38, v9, v47
	v_mul_f32_e32 v15, v12, v47
	v_fmac_f32_e32 v38, v46, v12
	v_fma_f32 v15, v46, v9, -v15
	v_mul_f32_e32 v9, v11, v38
	v_fmac_f32_e32 v9, v10, v15
	v_mul_f32_e32 v10, v10, v38
	v_lshrrev_b32_e32 v12, 9, v50
	v_fma_f32 v10, v11, v15, -v10
	v_lshrrev_b32_e32 v11, 3, v50
	v_and_b32_e32 v12, 0x1f8, v12
	v_add_u32_e32 v38, v50, v39
	v_and_b32_e32 v11, 0x1f8, v11
	v_add_u32_e32 v15, s0, v12
	;; [unrolled: 2-line block ×3, first 2 shown]
	v_lshl_add_u32 v44, v12, 3, 0
	v_lshrrev_b32_e32 v12, 3, v38
	v_and_b32_e32 v42, 0x1f8, v12
	ds_read_b64 v[11:12], v11 offset:512
	v_add_u32_e32 v46, s0, v42
	ds_read_b64 v[42:43], v15 offset:1024
	ds_read_b64 v[44:45], v44 offset:16184
	;; [unrolled: 1-line block ×3, first 2 shown]
	s_lshl_b32 s4, s6, 3
	s_mov_b32 s1, s23
	s_waitcnt lgkmcnt(3)
	v_mul_f32_e32 v15, v49, v12
	v_mul_f32_e32 v12, v48, v12
	v_fmac_f32_e32 v12, v49, v11
	v_fma_f32 v15, v48, v11, -v15
	s_waitcnt lgkmcnt(2)
	v_mul_f32_e32 v11, v12, v43
	v_fma_f32 v48, v42, v15, -v11
	v_mul_f32_e32 v15, v15, v43
	v_fmac_f32_e32 v15, v42, v12
	v_mul_f32_e32 v11, v41, v15
	v_fmac_f32_e32 v11, v40, v48
	v_mul_f32_e32 v12, v40, v15
	v_lshrrev_b32_e32 v15, 9, v38
	s_waitcnt lgkmcnt(0)
	v_mul_f32_e32 v40, v45, v47
	v_add_u32_e32 v38, v38, v39
	v_fma_f32 v12, v41, v48, -v12
	v_fma_f32 v48, v44, v46, -v40
	v_and_b32_e32 v40, 63, v38
	v_lshl_add_u32 v42, v40, 3, 0
	v_lshrrev_b32_e32 v40, 3, v38
	v_and_b32_e32 v15, 0x1f8, v15
	v_and_b32_e32 v40, 0x1f8, v40
	v_add_u32_e32 v15, s0, v15
	v_mul_f32_e32 v49, v44, v47
	v_add_u32_e32 v44, s0, v40
	v_lshrrev_b32_e32 v40, 9, v38
	v_and_b32_e32 v43, 0x1f8, v40
	ds_read_b64 v[40:41], v15 offset:1024
	v_fmac_f32_e32 v49, v45, v46
	v_add_u32_e32 v15, s0, v43
	ds_read_b64 v[42:43], v42 offset:16184
	ds_read_b64 v[44:45], v44 offset:512
	;; [unrolled: 1-line block ×3, first 2 shown]
	s_waitcnt lgkmcnt(3)
	v_mul_f32_e32 v15, v49, v41
	v_mul_f32_e32 v41, v48, v41
	v_fmac_f32_e32 v41, v40, v49
	v_fma_f32 v50, v40, v48, -v15
	v_mul_f32_e32 v15, v16, v41
	v_fmac_f32_e32 v15, v13, v50
	v_mul_f32_e32 v13, v13, v41
	v_fma_f32 v16, v16, v50, -v13
	s_waitcnt lgkmcnt(1)
	v_mul_f32_e32 v13, v43, v45
	v_fma_f32 v13, v42, v44, -v13
	v_mul_f32_e32 v40, v42, v45
	v_fmac_f32_e32 v40, v43, v44
	s_waitcnt lgkmcnt(0)
	v_mul_f32_e32 v42, v13, v47
	v_mul_f32_e32 v41, v40, v47
	v_fmac_f32_e32 v42, v46, v40
	v_fma_f32 v41, v46, v13, -v41
	v_mul_f32_e32 v13, v19, v42
	v_fmac_f32_e32 v13, v14, v41
	v_mul_f32_e32 v14, v14, v42
	v_fma_f32 v14, v19, v41, -v14
	v_add_u32_e32 v19, v38, v39
	v_lshrrev_b32_e32 v40, 3, v19
	v_and_b32_e32 v40, 0x1f8, v40
	v_and_b32_e32 v38, 63, v19
	v_add_u32_e32 v42, s0, v40
	v_lshrrev_b32_e32 v40, 9, v19
	v_lshl_add_u32 v38, v38, 3, 0
	v_and_b32_e32 v40, 0x1f8, v40
	v_add_u32_e32 v44, s0, v40
	ds_read_b64 v[40:41], v38 offset:16184
	ds_read_b64 v[42:43], v42 offset:512
	v_add_u32_e32 v48, v19, v39
	v_and_b32_e32 v19, 63, v48
	v_lshl_add_u32 v19, v19, 3, 0
	ds_read_b64 v[44:45], v44 offset:1024
	ds_read_b64 v[46:47], v19 offset:16184
	s_waitcnt lgkmcnt(2)
	v_mul_f32_e32 v19, v41, v43
	v_fma_f32 v19, v40, v42, -v19
	v_mul_f32_e32 v38, v40, v43
	v_fmac_f32_e32 v38, v41, v42
	s_waitcnt lgkmcnt(1)
	v_mul_f32_e32 v41, v19, v45
	v_mul_f32_e32 v40, v38, v45
	v_fmac_f32_e32 v41, v44, v38
	v_fma_f32 v40, v44, v19, -v40
	v_mul_f32_e32 v19, v27, v41
	v_fmac_f32_e32 v19, v20, v40
	v_mul_f32_e32 v20, v20, v41
	v_fma_f32 v20, v27, v40, -v20
	v_lshrrev_b32_e32 v27, 3, v48
	v_add_u32_e32 v50, v48, v39
	v_and_b32_e32 v27, 0x1f8, v27
	v_and_b32_e32 v40, 63, v50
	v_add_u32_e32 v27, s0, v27
	v_lshl_add_u32 v44, v40, 3, 0
	v_lshrrev_b32_e32 v40, 3, v50
	v_and_b32_e32 v42, 0x1f8, v40
	ds_read_b64 v[40:41], v27 offset:512
	v_lshrrev_b32_e32 v38, 9, v48
	v_and_b32_e32 v38, 0x1f8, v38
	v_add_u32_e32 v38, s0, v38
	v_add_u32_e32 v27, s0, v42
	ds_read_b64 v[42:43], v38 offset:1024
	ds_read_b64 v[44:45], v44 offset:16184
	;; [unrolled: 1-line block ×3, first 2 shown]
	s_waitcnt lgkmcnt(3)
	v_mul_f32_e32 v27, v47, v41
	v_fma_f32 v27, v46, v40, -v27
	v_mul_f32_e32 v38, v46, v41
	v_fmac_f32_e32 v38, v47, v40
	s_waitcnt lgkmcnt(2)
	v_mul_f32_e32 v41, v27, v43
	v_mul_f32_e32 v40, v38, v43
	v_fmac_f32_e32 v41, v42, v38
	v_fma_f32 v40, v42, v27, -v40
	v_mul_f32_e32 v27, v31, v41
	s_waitcnt lgkmcnt(0)
	v_mul_f32_e32 v38, v45, v49
	v_mul_f32_e32 v49, v44, v49
	v_fmac_f32_e32 v27, v28, v40
	v_mul_f32_e32 v28, v28, v41
	v_fma_f32 v38, v44, v48, -v38
	v_fmac_f32_e32 v49, v45, v48
	v_add_u32_e32 v48, v50, v39
	v_fma_f32 v28, v31, v40, -v28
	v_and_b32_e32 v40, 63, v48
	v_lshrrev_b32_e32 v31, 9, v50
	v_lshl_add_u32 v42, v40, 3, 0
	v_lshrrev_b32_e32 v40, 3, v48
	v_and_b32_e32 v31, 0x1f8, v31
	v_and_b32_e32 v40, 0x1f8, v40
	v_add_u32_e32 v31, s0, v31
	v_add_u32_e32 v44, s0, v40
	v_lshrrev_b32_e32 v40, 9, v48
	v_and_b32_e32 v43, 0x1f8, v40
	ds_read_b64 v[40:41], v31 offset:1024
	v_add_u32_e32 v31, s0, v43
	ds_read_b64 v[42:43], v42 offset:16184
	ds_read_b64 v[44:45], v44 offset:512
	ds_read_b64 v[46:47], v31 offset:1024
	s_waitcnt lgkmcnt(3)
	v_mul_f32_e32 v31, v49, v41
	v_fma_f32 v50, v40, v38, -v31
	v_mul_f32_e32 v38, v38, v41
	v_fmac_f32_e32 v38, v40, v49
	v_mul_f32_e32 v31, v32, v38
	v_fmac_f32_e32 v31, v29, v50
	v_mul_f32_e32 v29, v29, v38
	v_fma_f32 v32, v32, v50, -v29
	s_waitcnt lgkmcnt(1)
	v_mul_f32_e32 v29, v43, v45
	v_fma_f32 v29, v42, v44, -v29
	v_mul_f32_e32 v38, v42, v45
	v_fmac_f32_e32 v38, v43, v44
	s_waitcnt lgkmcnt(0)
	v_mul_f32_e32 v41, v29, v47
	v_mul_f32_e32 v40, v38, v47
	v_fmac_f32_e32 v41, v46, v38
	v_fma_f32 v40, v46, v29, -v40
	v_mul_f32_e32 v29, v33, v41
	v_fmac_f32_e32 v29, v30, v40
	v_mul_f32_e32 v30, v30, v41
	v_fma_f32 v30, v33, v40, -v30
	v_add_u32_e32 v33, v48, v39
	v_lshrrev_b32_e32 v39, 3, v33
	v_and_b32_e32 v38, 63, v33
	v_and_b32_e32 v39, 0x1f8, v39
	v_lshl_add_u32 v38, v38, 3, 0
	v_add_u32_e32 v40, s0, v39
	v_lshrrev_b32_e32 v33, 9, v33
	ds_read_b64 v[38:39], v38 offset:16184
	ds_read_b64 v[40:41], v40 offset:512
	v_and_b32_e32 v33, 0x1f8, v33
	v_add_u32_e32 v33, s0, v33
	ds_read_b64 v[42:43], v33 offset:1024
	s_mov_b32 s0, 0x226b903
	s_waitcnt lgkmcnt(1)
	v_mul_f32_e32 v33, v39, v41
	v_fma_f32 v33, v38, v40, -v33
	v_mul_f32_e32 v38, v38, v41
	v_fmac_f32_e32 v38, v39, v40
	s_waitcnt lgkmcnt(0)
	v_mul_f32_e32 v40, v33, v43
	v_mul_f32_e32 v39, v38, v43
	v_fmac_f32_e32 v40, v42, v38
	v_mul_hi_u32 v38, v0, s0
	s_movk_i32 s0, 0x121
	v_mul_lo_u32 v0, s18, v34
	v_fma_f32 v39, v42, v33, -v39
	v_mad_u32_u24 v35, v38, s0, v35
	v_mul_lo_u32 v38, s16, v35
	v_mul_f32_e32 v33, v37, v40
	v_mul_f32_e32 v34, v36, v40
	v_fmac_f32_e32 v33, v36, v39
	v_fma_f32 v34, v37, v39, -v34
	v_add_lshl_u32 v36, v0, v38, 3
	v_add_u32_e32 v37, 17, v35
	v_cndmask_b32_e32 v36, -1, v36, vcc
	s_mov_b32 s0, s22
	v_mul_lo_u32 v37, s16, v37
	buffer_store_dwordx2 v[21:22], v36, s[0:3], s4 offen
	v_add_u32_e32 v21, 34, v35
	v_mul_lo_u32 v21, s16, v21
	v_add_lshl_u32 v22, v0, v37, 3
	v_cndmask_b32_e32 v22, -1, v22, vcc
	buffer_store_dwordx2 v[23:24], v22, s[0:3], s4 offen
	v_add_lshl_u32 v21, v0, v21, 3
	v_add_u32_e32 v22, 51, v35
	v_cndmask_b32_e32 v21, -1, v21, vcc
	v_mul_lo_u32 v22, s16, v22
	buffer_store_dwordx2 v[25:26], v21, s[0:3], s4 offen
	v_add_u32_e32 v21, 0x44, v35
	v_mul_lo_u32 v21, s16, v21
	v_add_lshl_u32 v22, v0, v22, 3
	v_cndmask_b32_e32 v22, -1, v22, vcc
	buffer_store_dwordx2 v[17:18], v22, s[0:3], s4 offen
	v_add_lshl_u32 v17, v0, v21, 3
	v_cndmask_b32_e32 v17, -1, v17, vcc
	v_add_u32_e32 v18, 0x55, v35
	buffer_store_dwordx2 v[1:2], v17, s[0:3], s4 offen
	v_add_u32_e32 v1, 0x66, v35
	v_mul_lo_u32 v18, s16, v18
	v_mul_lo_u32 v1, s16, v1
	v_add_lshl_u32 v2, v0, v18, 3
	v_add_lshl_u32 v1, v0, v1, 3
	v_cndmask_b32_e32 v2, -1, v2, vcc
	v_cndmask_b32_e32 v1, -1, v1, vcc
	buffer_store_dwordx2 v[3:4], v2, s[0:3], s4 offen
	v_add_u32_e32 v2, 0x77, v35
	buffer_store_dwordx2 v[7:8], v1, s[0:3], s4 offen
	v_add_u32_e32 v1, 0x88, v35
	v_mul_lo_u32 v2, s16, v2
	v_mul_lo_u32 v1, s16, v1
	v_add_lshl_u32 v2, v0, v2, 3
	v_add_lshl_u32 v1, v0, v1, 3
	v_cndmask_b32_e32 v2, -1, v2, vcc
	v_cndmask_b32_e32 v1, -1, v1, vcc
	buffer_store_dwordx2 v[5:6], v2, s[0:3], s4 offen
	;; [unrolled: 10-line block ×6, first 2 shown]
	buffer_store_dwordx2 v[33:34], v0, s[0:3], s4 offen
	s_endpgm
	.section	.rodata,"a",@progbits
	.p2align	6, 0x0
	.amdhsa_kernel fft_rtc_back_len289_factors_17_17_wgs_119_tpt_17_sp_op_CI_CI_sbcc_twdbase6_3step_dirReg_intrinsicReadWrite
		.amdhsa_group_segment_fixed_size 0
		.amdhsa_private_segment_fixed_size 0
		.amdhsa_kernarg_size 112
		.amdhsa_user_sgpr_count 6
		.amdhsa_user_sgpr_private_segment_buffer 1
		.amdhsa_user_sgpr_dispatch_ptr 0
		.amdhsa_user_sgpr_queue_ptr 0
		.amdhsa_user_sgpr_kernarg_segment_ptr 1
		.amdhsa_user_sgpr_dispatch_id 0
		.amdhsa_user_sgpr_flat_scratch_init 0
		.amdhsa_user_sgpr_private_segment_size 0
		.amdhsa_uses_dynamic_stack 0
		.amdhsa_system_sgpr_private_segment_wavefront_offset 0
		.amdhsa_system_sgpr_workgroup_id_x 1
		.amdhsa_system_sgpr_workgroup_id_y 0
		.amdhsa_system_sgpr_workgroup_id_z 0
		.amdhsa_system_sgpr_workgroup_info 0
		.amdhsa_system_vgpr_workitem_id 0
		.amdhsa_next_free_vgpr 71
		.amdhsa_next_free_sgpr 51
		.amdhsa_reserve_vcc 1
		.amdhsa_reserve_flat_scratch 0
		.amdhsa_float_round_mode_32 0
		.amdhsa_float_round_mode_16_64 0
		.amdhsa_float_denorm_mode_32 3
		.amdhsa_float_denorm_mode_16_64 3
		.amdhsa_dx10_clamp 1
		.amdhsa_ieee_mode 1
		.amdhsa_fp16_overflow 0
		.amdhsa_exception_fp_ieee_invalid_op 0
		.amdhsa_exception_fp_denorm_src 0
		.amdhsa_exception_fp_ieee_div_zero 0
		.amdhsa_exception_fp_ieee_overflow 0
		.amdhsa_exception_fp_ieee_underflow 0
		.amdhsa_exception_fp_ieee_inexact 0
		.amdhsa_exception_int_div_zero 0
	.end_amdhsa_kernel
	.text
.Lfunc_end0:
	.size	fft_rtc_back_len289_factors_17_17_wgs_119_tpt_17_sp_op_CI_CI_sbcc_twdbase6_3step_dirReg_intrinsicReadWrite, .Lfunc_end0-fft_rtc_back_len289_factors_17_17_wgs_119_tpt_17_sp_op_CI_CI_sbcc_twdbase6_3step_dirReg_intrinsicReadWrite
                                        ; -- End function
	.section	.AMDGPU.csdata,"",@progbits
; Kernel info:
; codeLenInByte = 15616
; NumSgprs: 55
; NumVgprs: 71
; ScratchSize: 0
; MemoryBound: 0
; FloatMode: 240
; IeeeMode: 1
; LDSByteSize: 0 bytes/workgroup (compile time only)
; SGPRBlocks: 6
; VGPRBlocks: 17
; NumSGPRsForWavesPerEU: 55
; NumVGPRsForWavesPerEU: 71
; Occupancy: 3
; WaveLimiterHint : 0
; COMPUTE_PGM_RSRC2:SCRATCH_EN: 0
; COMPUTE_PGM_RSRC2:USER_SGPR: 6
; COMPUTE_PGM_RSRC2:TRAP_HANDLER: 0
; COMPUTE_PGM_RSRC2:TGID_X_EN: 1
; COMPUTE_PGM_RSRC2:TGID_Y_EN: 0
; COMPUTE_PGM_RSRC2:TGID_Z_EN: 0
; COMPUTE_PGM_RSRC2:TIDIG_COMP_CNT: 0
	.type	__hip_cuid_8676768bcddc5918,@object ; @__hip_cuid_8676768bcddc5918
	.section	.bss,"aw",@nobits
	.globl	__hip_cuid_8676768bcddc5918
__hip_cuid_8676768bcddc5918:
	.byte	0                               ; 0x0
	.size	__hip_cuid_8676768bcddc5918, 1

	.ident	"AMD clang version 19.0.0git (https://github.com/RadeonOpenCompute/llvm-project roc-6.4.0 25133 c7fe45cf4b819c5991fe208aaa96edf142730f1d)"
	.section	".note.GNU-stack","",@progbits
	.addrsig
	.addrsig_sym __hip_cuid_8676768bcddc5918
	.amdgpu_metadata
---
amdhsa.kernels:
  - .args:
      - .actual_access:  read_only
        .address_space:  global
        .offset:         0
        .size:           8
        .value_kind:     global_buffer
      - .address_space:  global
        .offset:         8
        .size:           8
        .value_kind:     global_buffer
      - .offset:         16
        .size:           8
        .value_kind:     by_value
      - .actual_access:  read_only
        .address_space:  global
        .offset:         24
        .size:           8
        .value_kind:     global_buffer
      - .actual_access:  read_only
        .address_space:  global
        .offset:         32
        .size:           8
        .value_kind:     global_buffer
      - .actual_access:  read_only
        .address_space:  global
        .offset:         40
        .size:           8
        .value_kind:     global_buffer
      - .offset:         48
        .size:           8
        .value_kind:     by_value
      - .actual_access:  read_only
        .address_space:  global
        .offset:         56
        .size:           8
        .value_kind:     global_buffer
      - .actual_access:  read_only
        .address_space:  global
        .offset:         64
        .size:           8
        .value_kind:     global_buffer
      - .offset:         72
        .size:           4
        .value_kind:     by_value
      - .actual_access:  read_only
        .address_space:  global
        .offset:         80
        .size:           8
        .value_kind:     global_buffer
      - .actual_access:  read_only
        .address_space:  global
        .offset:         88
        .size:           8
        .value_kind:     global_buffer
      - .address_space:  global
        .offset:         96
        .size:           8
        .value_kind:     global_buffer
      - .address_space:  global
        .offset:         104
        .size:           8
        .value_kind:     global_buffer
    .group_segment_fixed_size: 0
    .kernarg_segment_align: 8
    .kernarg_segment_size: 112
    .language:       OpenCL C
    .language_version:
      - 2
      - 0
    .max_flat_workgroup_size: 119
    .name:           fft_rtc_back_len289_factors_17_17_wgs_119_tpt_17_sp_op_CI_CI_sbcc_twdbase6_3step_dirReg_intrinsicReadWrite
    .private_segment_fixed_size: 0
    .sgpr_count:     55
    .sgpr_spill_count: 0
    .symbol:         fft_rtc_back_len289_factors_17_17_wgs_119_tpt_17_sp_op_CI_CI_sbcc_twdbase6_3step_dirReg_intrinsicReadWrite.kd
    .uniform_work_group_size: 1
    .uses_dynamic_stack: false
    .vgpr_count:     71
    .vgpr_spill_count: 0
    .wavefront_size: 64
amdhsa.target:   amdgcn-amd-amdhsa--gfx906
amdhsa.version:
  - 1
  - 2
...

	.end_amdgpu_metadata
